;; amdgpu-corpus repo=ROCm/rocFFT kind=compiled arch=gfx906 opt=O3
	.text
	.amdgcn_target "amdgcn-amd-amdhsa--gfx906"
	.amdhsa_code_object_version 6
	.protected	bluestein_single_fwd_len135_dim1_dp_op_CI_CI ; -- Begin function bluestein_single_fwd_len135_dim1_dp_op_CI_CI
	.globl	bluestein_single_fwd_len135_dim1_dp_op_CI_CI
	.p2align	8
	.type	bluestein_single_fwd_len135_dim1_dp_op_CI_CI,@function
bluestein_single_fwd_len135_dim1_dp_op_CI_CI: ; @bluestein_single_fwd_len135_dim1_dp_op_CI_CI
; %bb.0:
	v_mul_u32_u24_e32 v1, 0x1c72, v0
	s_mov_b64 s[30:31], s[2:3]
	s_load_dwordx4 s[12:15], s[4:5], 0x28
	v_lshrrev_b32_e32 v1, 16, v1
	s_mov_b64 s[28:29], s[0:1]
	v_mad_u64_u32 v[2:3], s[0:1], s6, 14, v[1:2]
	v_mov_b32_e32 v3, 0
	s_add_u32 s28, s28, s7
	s_waitcnt lgkmcnt(0)
	v_cmp_gt_u64_e32 vcc, s[12:13], v[2:3]
	s_addc_u32 s29, s29, 0
	s_and_saveexec_b64 s[0:1], vcc
	s_cbranch_execz .LBB0_2
; %bb.1:
	s_load_dwordx4 s[8:11], s[4:5], 0x0
	s_load_dwordx4 s[16:19], s[4:5], 0x18
	s_load_dwordx2 s[12:13], s[4:5], 0x38
	v_lshrrev_b32_e32 v3, 1, v2
	s_mov_b32 s0, 0x92492493
	v_mul_hi_u32 v3, v3, s0
	s_waitcnt lgkmcnt(0)
	s_load_dwordx4 s[0:3], s[18:19], 0x0
	v_mul_lo_u16_e32 v1, 9, v1
	v_sub_u16_e32 v20, v0, v1
	v_lshrrev_b32_e32 v3, 2, v3
	v_mul_lo_u32 v3, v3, 14
	s_waitcnt lgkmcnt(0)
	v_mad_u64_u32 v[5:6], s[4:5], s2, v2, 0
	s_mov_b32 s23, 0xbfee6f0e
	v_sub_u32_e32 v3, v2, v3
	v_mul_u32_u24_e32 v13, 0x87, v3
	v_mov_b32_e32 v3, v6
	v_mad_u64_u32 v[3:4], s[2:3], s3, v2, v[3:4]
	s_mov_b32 s20, 0x4755a5e
	s_mov_b32 s21, 0x3fe2cf23
	v_mov_b32_e32 v6, v3
	buffer_store_dword v5, off, s[28:31], 0 offset:16 ; 4-byte Folded Spill
	s_nop 0
	buffer_store_dword v6, off, s[28:31], 0 offset:20 ; 4-byte Folded Spill
	s_load_dwordx4 s[4:7], s[16:17], 0x0
	v_lshlrev_b32_e32 v6, 4, v20
	global_load_dwordx4 v[40:43], v6, s[8:9]
	s_mov_b32 s16, 0x134454ff
	s_mov_b32 s17, 0x3fee6f0e
	s_waitcnt lgkmcnt(0)
	v_mad_u64_u32 v[3:4], s[2:3], s6, v2, 0
	v_mad_u64_u32 v[0:1], s[2:3], s4, v20, 0
	s_add_u32 s6, s8, 0x870
	s_mov_b32 s22, s16
	s_mov_b32 s19, 0xbfe2cf23
	;; [unrolled: 1-line block ×3, first 2 shown]
	v_mad_u64_u32 v[4:5], s[2:3], s7, v2, v[4:5]
	v_mad_u64_u32 v[1:2], s[2:3], s5, v20, v[1:2]
	v_lshlrev_b64 v[2:3], 4, v[3:4]
	v_mov_b32_e32 v4, s15
	v_add_co_u32_e32 v2, vcc, s14, v2
	v_lshlrev_b64 v[0:1], 4, v[0:1]
	v_addc_co_u32_e32 v3, vcc, v4, v3, vcc
	v_add_co_u32_e32 v0, vcc, v2, v0
	v_addc_co_u32_e32 v1, vcc, v3, v1, vcc
	global_load_dwordx4 v[7:10], v[0:1], off
	v_lshlrev_b32_e32 v2, 4, v13
	s_mul_i32 s2, s5, 0x1b0
	s_mul_hi_u32 s3, s4, 0x1b0
	s_addc_u32 s7, s9, 0
	v_add_co_u32_e32 v164, vcc, 27, v20
	s_add_i32 s2, s3, s2
	s_mul_i32 s3, s4, 0x1b0
	v_add_co_u32_e32 v0, vcc, s3, v0
	v_mov_b32_e32 v3, s2
	v_addc_co_u32_e32 v1, vcc, v1, v3, vcc
	s_mulk_i32 s5, 0xf9d0
	s_sub_i32 s5, s5, s4
	s_waitcnt vmcnt(0)
	v_mul_f64 v[4:5], v[9:10], v[42:43]
	v_fma_f64 v[11:12], v[7:8], v[40:41], v[4:5]
	v_mul_f64 v[4:5], v[7:8], v[42:43]
	v_fma_f64 v[13:14], v[9:10], v[40:41], -v[4:5]
	v_add_u32_e32 v4, v6, v2
	v_mov_b32_e32 v5, 0xfffff9d0
	ds_write_b128 v4, v[11:14]
	global_load_dwordx4 v[7:10], v[0:1], off
	global_load_dwordx4 v[44:47], v6, s[8:9] offset:432
	v_add_co_u32_e32 v0, vcc, s3, v0
	v_addc_co_u32_e32 v1, vcc, v1, v3, vcc
	s_waitcnt vmcnt(0)
	v_mul_f64 v[11:12], v[9:10], v[46:47]
	v_fma_f64 v[11:12], v[7:8], v[44:45], v[11:12]
	v_mul_f64 v[7:8], v[7:8], v[46:47]
	v_fma_f64 v[13:14], v[9:10], v[44:45], -v[7:8]
	ds_write_b128 v4, v[11:14] offset:432
	global_load_dwordx4 v[7:10], v[0:1], off
	global_load_dwordx4 v[48:51], v6, s[8:9] offset:864
	v_add_co_u32_e32 v0, vcc, s3, v0
	v_addc_co_u32_e32 v1, vcc, v1, v3, vcc
	s_waitcnt vmcnt(0)
	v_mul_f64 v[11:12], v[9:10], v[50:51]
	v_fma_f64 v[11:12], v[7:8], v[48:49], v[11:12]
	v_mul_f64 v[7:8], v[7:8], v[50:51]
	v_fma_f64 v[13:14], v[9:10], v[48:49], -v[7:8]
	ds_write_b128 v4, v[11:14] offset:864
	global_load_dwordx4 v[7:10], v[0:1], off
	global_load_dwordx4 v[52:55], v6, s[8:9] offset:1296
	v_add_co_u32_e32 v0, vcc, s3, v0
	v_addc_co_u32_e32 v1, vcc, v1, v3, vcc
	v_mov_b32_e32 v3, 0xfffff9d0
	v_add_co_u32_e32 v162, vcc, 9, v20
	s_waitcnt vmcnt(0)
	v_mul_f64 v[11:12], v[9:10], v[54:55]
	v_fma_f64 v[11:12], v[7:8], v[52:53], v[11:12]
	v_mul_f64 v[7:8], v[7:8], v[54:55]
	v_fma_f64 v[13:14], v[9:10], v[52:53], -v[7:8]
	ds_write_b128 v4, v[11:14] offset:1296
	global_load_dwordx4 v[7:10], v[0:1], off
	global_load_dwordx4 v[56:59], v6, s[8:9] offset:1728
	v_mad_u64_u32 v[0:1], s[14:15], s4, v3, v[0:1]
	v_mov_b32_e32 v3, s2
	v_add_u32_e32 v1, s5, v1
	s_waitcnt vmcnt(0)
	v_mul_f64 v[11:12], v[9:10], v[58:59]
	v_fma_f64 v[11:12], v[7:8], v[56:57], v[11:12]
	v_mul_f64 v[7:8], v[7:8], v[58:59]
	v_fma_f64 v[13:14], v[9:10], v[56:57], -v[7:8]
	v_addc_co_u32_e64 v7, s[14:15], 0, 0, vcc
	v_add_co_u32_e32 v172, vcc, 36, v20
	ds_write_b128 v4, v[11:14] offset:1728
	global_load_dwordx4 v[8:11], v[0:1], off
	global_load_dwordx4 v[14:17], v6, s[8:9] offset:144
	v_add_co_u32_e32 v0, vcc, s3, v0
	v_addc_co_u32_e32 v1, vcc, v1, v3, vcc
	s_waitcnt vmcnt(0)
	buffer_store_dword v14, off, s[28:31], 0 offset:40 ; 4-byte Folded Spill
	s_nop 0
	buffer_store_dword v15, off, s[28:31], 0 offset:44 ; 4-byte Folded Spill
	buffer_store_dword v16, off, s[28:31], 0 offset:48 ; 4-byte Folded Spill
	;; [unrolled: 1-line block ×3, first 2 shown]
	v_mul_f64 v[12:13], v[10:11], v[16:17]
	v_fma_f64 v[12:13], v[8:9], v[14:15], v[12:13]
	v_mul_f64 v[8:9], v[8:9], v[16:17]
	v_fma_f64 v[14:15], v[10:11], v[14:15], -v[8:9]
	ds_write_b128 v4, v[12:15] offset:144
	global_load_dwordx4 v[8:11], v[0:1], off
	global_load_dwordx4 v[24:27], v6, s[8:9] offset:576
	v_add_co_u32_e32 v0, vcc, s3, v0
	v_addc_co_u32_e32 v1, vcc, v1, v3, vcc
	s_waitcnt vmcnt(0)
	v_mul_f64 v[12:13], v[10:11], v[26:27]
	v_fma_f64 v[12:13], v[8:9], v[24:25], v[12:13]
	v_mul_f64 v[8:9], v[8:9], v[26:27]
	v_fma_f64 v[14:15], v[10:11], v[24:25], -v[8:9]
	ds_write_b128 v4, v[12:15] offset:576
	global_load_dwordx4 v[8:11], v[0:1], off
	global_load_dwordx4 v[28:31], v6, s[8:9] offset:1008
	v_add_co_u32_e32 v0, vcc, s3, v0
	v_addc_co_u32_e32 v1, vcc, v1, v3, vcc
	s_waitcnt vmcnt(0)
	v_mul_f64 v[12:13], v[10:11], v[30:31]
	v_fma_f64 v[12:13], v[8:9], v[28:29], v[12:13]
	v_mul_f64 v[8:9], v[8:9], v[30:31]
	v_fma_f64 v[14:15], v[10:11], v[28:29], -v[8:9]
	ds_write_b128 v4, v[12:15] offset:1008
	global_load_dwordx4 v[8:11], v[0:1], off
	global_load_dwordx4 v[32:35], v6, s[8:9] offset:1440
	v_add_co_u32_e32 v0, vcc, s3, v0
	v_addc_co_u32_e32 v1, vcc, v1, v3, vcc
	v_add_co_u32_e32 v163, vcc, 18, v20
	s_waitcnt vmcnt(0)
	v_mul_f64 v[12:13], v[10:11], v[34:35]
	v_fma_f64 v[12:13], v[8:9], v[32:33], v[12:13]
	v_mul_f64 v[8:9], v[8:9], v[34:35]
	v_fma_f64 v[14:15], v[10:11], v[32:33], -v[8:9]
	ds_write_b128 v4, v[12:15] offset:1440
	global_load_dwordx4 v[8:11], v[0:1], off
	global_load_dwordx4 v[36:39], v6, s[8:9] offset:1872
	v_mad_u64_u32 v[0:1], s[14:15], s4, v5, v[0:1]
	s_mov_b32 s14, 0x372fe950
	s_mov_b32 s15, 0x3fd3c6ef
	v_add_u32_e32 v1, s5, v1
	s_mov_b32 s4, 0xe8584caa
	s_mov_b32 s5, 0x3febb67a
	s_waitcnt vmcnt(0)
	v_mul_f64 v[12:13], v[10:11], v[38:39]
	v_fma_f64 v[12:13], v[8:9], v[36:37], v[12:13]
	v_mul_f64 v[8:9], v[8:9], v[38:39]
	v_fma_f64 v[14:15], v[10:11], v[36:37], -v[8:9]
	ds_write_b128 v4, v[12:15] offset:1872
	global_load_dwordx4 v[8:11], v[0:1], off
	global_load_dwordx4 v[12:15], v6, s[8:9] offset:288
	v_add_co_u32_e32 v0, vcc, s3, v0
	v_addc_co_u32_e32 v1, vcc, v1, v3, vcc
	s_waitcnt vmcnt(0)
	v_mul_f64 v[16:17], v[10:11], v[14:15]
	v_fma_f64 v[16:17], v[8:9], v[12:13], v[16:17]
	v_mul_f64 v[8:9], v[8:9], v[14:15]
	v_fma_f64 v[18:19], v[10:11], v[12:13], -v[8:9]
	ds_write_b128 v4, v[16:19] offset:288
	global_load_dwordx4 v[8:11], v[0:1], off
	global_load_dwordx4 v[16:19], v6, s[8:9] offset:720
	v_add_co_u32_e32 v0, vcc, s3, v0
	v_addc_co_u32_e32 v1, vcc, v1, v3, vcc
	;; [unrolled: 10-line block ×4, first 2 shown]
	s_waitcnt vmcnt(0)
	buffer_store_dword v66, off, s[28:31], 0 ; 4-byte Folded Spill
	s_nop 0
	buffer_store_dword v67, off, s[28:31], 0 offset:4 ; 4-byte Folded Spill
	buffer_store_dword v68, off, s[28:31], 0 offset:8 ; 4-byte Folded Spill
	;; [unrolled: 1-line block ×3, first 2 shown]
	v_mul_f64 v[21:22], v[62:63], v[68:69]
	v_fma_f64 v[64:65], v[60:61], v[66:67], v[21:22]
	v_mul_f64 v[21:22], v[60:61], v[68:69]
	v_fma_f64 v[66:67], v[62:63], v[66:67], -v[21:22]
	ds_write_b128 v4, v[64:67] offset:1584
	global_load_dwordx4 v[60:63], v[0:1], off
	global_load_dwordx4 v[64:67], v6, s[8:9] offset:2016
	s_waitcnt vmcnt(0)
	v_mov_b32_e32 v69, v67
	v_mov_b32_e32 v68, v66
	v_mul_f64 v[0:1], v[62:63], v[68:69]
	v_mov_b32_e32 v67, v65
	v_mov_b32_e32 v66, v64
	v_fma_f64 v[64:65], v[60:61], v[66:67], v[0:1]
	v_mul_f64 v[0:1], v[60:61], v[68:69]
	buffer_store_dword v66, off, s[28:31], 0 offset:24 ; 4-byte Folded Spill
	s_nop 0
	buffer_store_dword v67, off, s[28:31], 0 offset:28 ; 4-byte Folded Spill
	buffer_store_dword v68, off, s[28:31], 0 offset:32 ; 4-byte Folded Spill
	;; [unrolled: 1-line block ×3, first 2 shown]
	v_fma_f64 v[66:67], v[62:63], v[66:67], -v[0:1]
	ds_write_b128 v4, v[64:67] offset:2016
	s_waitcnt vmcnt(0) lgkmcnt(0)
	s_barrier
	ds_read_b128 v[92:95], v4
	ds_read_b128 v[120:123], v4 offset:432
	ds_read_b128 v[124:127], v4 offset:864
	;; [unrolled: 1-line block ×14, first 2 shown]
	s_waitcnt lgkmcnt(13)
	v_add_f64 v[0:1], v[92:93], v[120:121]
	s_waitcnt lgkmcnt(10)
	v_add_f64 v[21:22], v[122:123], -v[134:135]
	v_add_f64 v[86:87], v[126:127], -v[130:131]
	;; [unrolled: 1-line block ×6, first 2 shown]
	s_waitcnt lgkmcnt(0)
	v_add_f64 v[0:1], v[0:1], v[124:125]
	s_barrier
	v_add_f64 v[84:85], v[84:85], v[88:89]
	v_add_f64 v[0:1], v[0:1], v[128:129]
	v_add_f64 v[80:81], v[0:1], v[132:133]
	v_add_f64 v[0:1], v[124:125], v[128:129]
	v_fma_f64 v[0:1], v[0:1], -0.5, v[92:93]
	v_fma_f64 v[82:83], v[21:22], s[16:17], v[0:1]
	v_fma_f64 v[0:1], v[21:22], s[22:23], v[0:1]
	;; [unrolled: 1-line block ×6, first 2 shown]
	v_add_f64 v[0:1], v[120:121], v[132:133]
	v_fma_f64 v[0:1], v[0:1], -0.5, v[92:93]
	v_add_f64 v[92:93], v[128:129], -v[132:133]
	v_fma_f64 v[82:83], v[86:87], s[22:23], v[0:1]
	v_fma_f64 v[0:1], v[86:87], s[16:17], v[0:1]
	v_add_f64 v[90:91], v[90:91], v[92:93]
	v_fma_f64 v[82:83], v[21:22], s[20:21], v[82:83]
	v_fma_f64 v[0:1], v[21:22], s[18:19], v[0:1]
	v_add_f64 v[21:22], v[120:121], -v[132:133]
	v_add_f64 v[120:121], v[124:125], -v[128:129]
	;; [unrolled: 1-line block ×4, first 2 shown]
	v_fma_f64 v[96:97], v[90:91], s[14:15], v[82:83]
	v_fma_f64 v[92:93], v[90:91], s[14:15], v[0:1]
	v_add_f64 v[0:1], v[94:95], v[122:123]
	v_add_f64 v[90:91], v[122:123], -v[126:127]
	v_add_f64 v[124:125], v[124:125], v[128:129]
	v_add_f64 v[0:1], v[0:1], v[126:127]
	;; [unrolled: 1-line block ×6, first 2 shown]
	v_fma_f64 v[0:1], v[0:1], -0.5, v[94:95]
	v_fma_f64 v[86:87], v[21:22], s[22:23], v[0:1]
	v_fma_f64 v[0:1], v[21:22], s[16:17], v[0:1]
	;; [unrolled: 1-line block ×6, first 2 shown]
	v_add_f64 v[0:1], v[122:123], v[134:135]
	v_add_f64 v[98:99], v[126:127], -v[122:123]
	v_add_f64 v[122:123], v[130:131], -v[134:135]
	;; [unrolled: 1-line block ×4, first 2 shown]
	v_fma_f64 v[0:1], v[0:1], -0.5, v[94:95]
	v_add_f64 v[122:123], v[98:99], v[122:123]
	v_fma_f64 v[94:95], v[120:121], s[16:17], v[0:1]
	v_fma_f64 v[0:1], v[120:121], s[22:23], v[0:1]
	;; [unrolled: 1-line block ×4, first 2 shown]
	v_add_f64 v[21:22], v[102:103], -v[118:119]
	v_fma_f64 v[98:99], v[122:123], s[14:15], v[94:95]
	v_fma_f64 v[94:95], v[122:123], s[14:15], v[0:1]
	v_add_f64 v[0:1], v[112:113], v[100:101]
	v_add_f64 v[0:1], v[0:1], v[104:105]
	;; [unrolled: 1-line block ×5, first 2 shown]
	v_fma_f64 v[0:1], v[0:1], -0.5, v[112:113]
	v_fma_f64 v[122:123], v[21:22], s[16:17], v[0:1]
	v_fma_f64 v[0:1], v[21:22], s[22:23], v[0:1]
	;; [unrolled: 1-line block ×6, first 2 shown]
	v_add_f64 v[0:1], v[100:101], v[116:117]
	v_add_f64 v[122:123], v[104:105], -v[100:101]
	v_add_f64 v[104:105], v[104:105], -v[108:109]
	;; [unrolled: 1-line block ×3, first 2 shown]
	v_fma_f64 v[0:1], v[0:1], -0.5, v[112:113]
	v_add_f64 v[122:123], v[122:123], v[130:131]
	v_fma_f64 v[112:113], v[126:127], s[22:23], v[0:1]
	v_fma_f64 v[0:1], v[126:127], s[16:17], v[0:1]
	;; [unrolled: 1-line block ×4, first 2 shown]
	v_add_f64 v[21:22], v[100:101], -v[116:117]
	v_add_f64 v[116:117], v[118:119], -v[110:111]
	v_fma_f64 v[112:113], v[122:123], s[14:15], v[112:113]
	v_fma_f64 v[132:133], v[122:123], s[14:15], v[0:1]
	v_add_f64 v[0:1], v[114:115], v[102:103]
	v_add_f64 v[108:109], v[108:109], v[116:117]
	v_add_f64 v[0:1], v[0:1], v[106:107]
	v_add_f64 v[0:1], v[0:1], v[110:111]
	v_add_f64 v[122:123], v[0:1], v[118:119]
	v_add_f64 v[0:1], v[106:107], v[110:111]
	v_fma_f64 v[0:1], v[0:1], -0.5, v[114:115]
	v_fma_f64 v[100:101], v[21:22], s[22:23], v[0:1]
	v_fma_f64 v[0:1], v[21:22], s[16:17], v[0:1]
	;; [unrolled: 1-line block ×6, first 2 shown]
	v_add_f64 v[0:1], v[102:103], v[118:119]
	v_add_f64 v[102:103], v[106:107], -v[102:103]
	v_add_f64 v[106:107], v[110:111], -v[118:119]
	;; [unrolled: 1-line block ×4, first 2 shown]
	v_fma_f64 v[0:1], v[0:1], -0.5, v[114:115]
	v_add_f64 v[102:103], v[102:103], v[106:107]
	v_add_f64 v[106:107], v[66:67], -v[70:71]
	v_fma_f64 v[100:101], v[104:105], s[16:17], v[0:1]
	v_fma_f64 v[0:1], v[104:105], s[22:23], v[0:1]
	v_add_f64 v[104:105], v[60:61], -v[64:65]
	v_fma_f64 v[100:101], v[21:22], s[18:19], v[100:101]
	v_fma_f64 v[0:1], v[21:22], s[20:21], v[0:1]
	v_add_f64 v[21:22], v[62:63], -v[74:75]
	v_add_f64 v[108:109], v[104:105], v[108:109]
	v_fma_f64 v[114:115], v[102:103], s[14:15], v[100:101]
	v_fma_f64 v[134:135], v[102:103], s[14:15], v[0:1]
	v_add_f64 v[0:1], v[76:77], v[60:61]
	v_add_f64 v[0:1], v[0:1], v[64:65]
	;; [unrolled: 1-line block ×5, first 2 shown]
	v_fma_f64 v[0:1], v[0:1], -0.5, v[76:77]
	v_fma_f64 v[102:103], v[21:22], s[16:17], v[0:1]
	v_fma_f64 v[0:1], v[21:22], s[22:23], v[0:1]
	;; [unrolled: 1-line block ×6, first 2 shown]
	v_add_f64 v[0:1], v[60:61], v[72:73]
	v_add_f64 v[102:103], v[64:65], -v[60:61]
	v_add_f64 v[64:65], v[64:65], -v[68:69]
	;; [unrolled: 1-line block ×3, first 2 shown]
	v_fma_f64 v[0:1], v[0:1], -0.5, v[76:77]
	v_add_f64 v[102:103], v[102:103], v[110:111]
	v_fma_f64 v[76:77], v[106:107], s[22:23], v[0:1]
	v_fma_f64 v[0:1], v[106:107], s[16:17], v[0:1]
	;; [unrolled: 1-line block ×4, first 2 shown]
	v_add_f64 v[21:22], v[60:61], -v[72:73]
	v_add_f64 v[72:73], v[74:75], -v[70:71]
	v_fma_f64 v[76:77], v[102:103], s[14:15], v[76:77]
	v_fma_f64 v[116:117], v[102:103], s[14:15], v[0:1]
	v_add_f64 v[0:1], v[78:79], v[62:63]
	v_add_f64 v[68:69], v[68:69], v[72:73]
	;; [unrolled: 1-line block ×6, first 2 shown]
	v_fma_f64 v[0:1], v[0:1], -0.5, v[78:79]
	v_fma_f64 v[60:61], v[21:22], s[22:23], v[0:1]
	v_fma_f64 v[0:1], v[21:22], s[16:17], v[0:1]
	;; [unrolled: 1-line block ×6, first 2 shown]
	v_add_f64 v[0:1], v[62:63], v[74:75]
	v_add_f64 v[62:63], v[66:67], -v[62:63]
	v_add_f64 v[66:67], v[70:71], -v[74:75]
	v_fma_f64 v[0:1], v[0:1], -0.5, v[78:79]
	v_add_f64 v[62:63], v[62:63], v[66:67]
	v_fma_f64 v[60:61], v[64:65], s[16:17], v[0:1]
	v_fma_f64 v[0:1], v[64:65], s[22:23], v[0:1]
	;; [unrolled: 1-line block ×6, first 2 shown]
	v_mul_lo_u16_e32 v0, 5, v20
	v_lshl_add_u32 v21, v0, 4, v2
	v_mul_u32_u24_e32 v0, 5, v162
	v_lshl_add_u32 v22, v0, 4, v2
	v_mul_u32_u24_e32 v0, 5, v163
	v_lshl_add_u32 v5, v0, 4, v2
	v_add_co_u32_e32 v0, vcc, -5, v20
	v_addc_co_u32_e64 v1, s[2:3], 0, -1, vcc
	v_cmp_gt_u16_e32 vcc, 5, v20
	ds_write_b128 v21, v[80:83]
	ds_write_b128 v21, v[88:91] offset:16
	ds_write_b128 v21, v[96:99] offset:32
	;; [unrolled: 1-line block ×4, first 2 shown]
	ds_write_b128 v22, v[120:123]
	ds_write_b128 v22, v[128:131] offset:16
	ds_write_b128 v22, v[112:115] offset:32
	;; [unrolled: 1-line block ×4, first 2 shown]
	v_cndmask_b32_e64 v121, v1, 0, vcc
	v_cndmask_b32_e32 v120, v0, v20, vcc
	v_lshlrev_b64 v[0:1], 5, v[120:121]
	v_mov_b32_e32 v121, s11
	v_add_co_u32_e32 v0, vcc, s10, v0
	v_addc_co_u32_e32 v1, vcc, v121, v1, vcc
	ds_write_b128 v5, v[100:103]
	ds_write_b128 v5, v[104:107] offset:16
	ds_write_b128 v5, v[76:79] offset:32
	;; [unrolled: 1-line block ×4, first 2 shown]
	s_waitcnt lgkmcnt(0)
	s_barrier
	ds_read_b128 v[116:119], v4
	ds_read_b128 v[68:71], v4 offset:720
	ds_read_b128 v[72:75], v4 offset:1440
	;; [unrolled: 1-line block ×14, first 2 shown]
	global_load_dwordx4 v[60:63], v[0:1], off offset:16
	global_load_dwordx4 v[64:67], v[0:1], off
	s_movk_i32 s2, 0xcd
	v_mul_lo_u16_sdwa v3, v162, s2 dst_sel:DWORD dst_unused:UNUSED_PAD src0_sel:BYTE_0 src1_sel:DWORD
	v_lshrrev_b16_e32 v122, 10, v3
	v_mul_lo_u16_e32 v3, 5, v122
	v_sub_u16_e32 v123, v162, v3
	v_lshlrev_b16_e32 v3, 1, v123
	v_and_b32_e32 v3, 0xfe, v3
	v_lshlrev_b32_e32 v3, 4, v3
	s_mov_b32 s3, 0xbfebb67a
	v_cmp_lt_u16_e32 vcc, 4, v20
	s_waitcnt vmcnt(0) lgkmcnt(13)
	v_mul_f64 v[0:1], v[70:71], v[66:67]
	v_fma_f64 v[0:1], v[68:69], v[64:65], -v[0:1]
	v_mul_f64 v[68:69], v[68:69], v[66:67]
	v_fma_f64 v[138:139], v[70:71], v[64:65], v[68:69]
	s_waitcnt lgkmcnt(12)
	v_mul_f64 v[68:69], v[74:75], v[62:63]
	v_fma_f64 v[140:141], v[72:73], v[60:61], -v[68:69]
	v_mul_f64 v[68:69], v[72:73], v[62:63]
	v_fma_f64 v[142:143], v[74:75], v[60:61], v[68:69]
	global_load_dwordx4 v[68:71], v3, s[10:11] offset:16
	global_load_dwordx4 v[72:75], v3, s[10:11]
	v_mul_lo_u16_sdwa v3, v163, s2 dst_sel:DWORD dst_unused:UNUSED_PAD src0_sel:BYTE_0 src1_sel:DWORD
	s_waitcnt vmcnt(0) lgkmcnt(10)
	v_mul_f64 v[124:125], v[78:79], v[74:75]
	v_fma_f64 v[144:145], v[76:77], v[72:73], -v[124:125]
	v_mul_f64 v[76:77], v[76:77], v[74:75]
	v_lshrrev_b16_e32 v124, 10, v3
	v_mul_lo_u16_e32 v3, 5, v124
	v_sub_u16_e32 v125, v163, v3
	v_lshlrev_b16_e32 v3, 1, v125
	v_and_b32_e32 v3, 0xfe, v3
	v_lshlrev_b32_e32 v3, 4, v3
	v_fma_f64 v[146:147], v[78:79], v[72:73], v[76:77]
	s_waitcnt lgkmcnt(9)
	v_mul_f64 v[76:77], v[82:83], v[70:71]
	v_fma_f64 v[148:149], v[80:81], v[68:69], -v[76:77]
	v_mul_f64 v[76:77], v[80:81], v[70:71]
	v_fma_f64 v[150:151], v[82:83], v[68:69], v[76:77]
	global_load_dwordx4 v[76:79], v3, s[10:11] offset:16
	global_load_dwordx4 v[80:83], v3, s[10:11]
	v_mul_lo_u16_sdwa v3, v164, s2 dst_sel:DWORD dst_unused:UNUSED_PAD src0_sel:BYTE_0 src1_sel:DWORD
	s_waitcnt vmcnt(0) lgkmcnt(7)
	v_mul_f64 v[126:127], v[86:87], v[82:83]
	v_fma_f64 v[152:153], v[84:85], v[80:81], -v[126:127]
	v_mul_f64 v[84:85], v[84:85], v[82:83]
	v_lshrrev_b16_e32 v126, 10, v3
	v_mul_lo_u16_e32 v3, 5, v126
	v_sub_u16_e32 v127, v164, v3
	v_lshlrev_b16_e32 v3, 1, v127
	v_and_b32_e32 v3, 0xfe, v3
	v_lshlrev_b32_e32 v3, 4, v3
	v_fma_f64 v[154:155], v[86:87], v[80:81], v[84:85]
	s_waitcnt lgkmcnt(6)
	v_mul_f64 v[84:85], v[90:91], v[78:79]
	v_fma_f64 v[156:157], v[88:89], v[76:77], -v[84:85]
	v_mul_f64 v[84:85], v[88:89], v[78:79]
	v_fma_f64 v[158:159], v[90:91], v[76:77], v[84:85]
	global_load_dwordx4 v[84:87], v3, s[10:11] offset:16
	global_load_dwordx4 v[88:91], v3, s[10:11]
	v_mul_lo_u16_sdwa v3, v172, s2 dst_sel:DWORD dst_unused:UNUSED_PAD src0_sel:BYTE_0 src1_sel:DWORD
	s_mov_b32 s2, s4
	s_waitcnt vmcnt(0) lgkmcnt(4)
	v_mul_f64 v[128:129], v[94:95], v[90:91]
	v_fma_f64 v[160:161], v[92:93], v[88:89], -v[128:129]
	v_mul_f64 v[92:93], v[92:93], v[90:91]
	v_lshrrev_b16_e32 v128, 10, v3
	v_mul_lo_u16_e32 v3, 5, v128
	v_sub_u16_e32 v129, v172, v3
	v_lshlrev_b16_e32 v3, 1, v129
	v_and_b32_e32 v3, 0xfe, v3
	v_lshlrev_b32_e32 v3, 4, v3
	v_fma_f64 v[165:166], v[94:95], v[88:89], v[92:93]
	s_waitcnt lgkmcnt(3)
	v_mul_f64 v[92:93], v[98:99], v[86:87]
	v_fma_f64 v[167:168], v[96:97], v[84:85], -v[92:93]
	v_mul_f64 v[92:93], v[96:97], v[86:87]
	v_fma_f64 v[169:170], v[98:99], v[84:85], v[92:93]
	global_load_dwordx4 v[92:95], v3, s[10:11] offset:16
	global_load_dwordx4 v[96:99], v3, s[10:11]
	s_waitcnt vmcnt(0) lgkmcnt(0)
	s_barrier
	v_mul_f64 v[173:174], v[132:133], v[98:99]
	v_fma_f64 v[175:176], v[130:131], v[96:97], -v[173:174]
	v_mul_f64 v[130:131], v[130:131], v[98:99]
	v_fma_f64 v[177:178], v[132:133], v[96:97], v[130:131]
	v_mul_f64 v[130:131], v[136:137], v[94:95]
	v_add_f64 v[132:133], v[0:1], v[140:141]
	v_fma_f64 v[179:180], v[134:135], v[92:93], -v[130:131]
	v_mul_f64 v[130:131], v[134:135], v[94:95]
	v_fma_f64 v[132:133], v[132:133], -0.5, v[116:117]
	v_add_f64 v[134:135], v[138:139], -v[142:143]
	v_fma_f64 v[181:182], v[136:137], v[92:93], v[130:131]
	v_add_f64 v[136:137], v[138:139], v[142:143]
	v_add_f64 v[130:131], v[116:117], v[0:1]
	v_add_f64 v[0:1], v[0:1], -v[140:141]
	v_fma_f64 v[116:117], v[134:135], s[4:5], v[132:133]
	v_fma_f64 v[134:135], v[134:135], s[2:3], v[132:133]
	v_add_f64 v[132:133], v[118:119], v[138:139]
	v_fma_f64 v[136:137], v[136:137], -0.5, v[118:119]
	v_add_f64 v[130:131], v[130:131], v[140:141]
	v_add_f64 v[140:141], v[146:147], -v[150:151]
	v_add_f64 v[132:133], v[132:133], v[142:143]
	v_fma_f64 v[118:119], v[0:1], s[2:3], v[136:137]
	v_fma_f64 v[136:137], v[0:1], s[4:5], v[136:137]
	v_add_f64 v[0:1], v[112:113], v[144:145]
	v_add_f64 v[138:139], v[0:1], v[148:149]
	;; [unrolled: 1-line block ×3, first 2 shown]
	v_add_f64 v[144:145], v[144:145], -v[148:149]
	v_add_f64 v[148:149], v[154:155], -v[158:159]
	v_fma_f64 v[0:1], v[0:1], -0.5, v[112:113]
	v_fma_f64 v[112:113], v[140:141], s[4:5], v[0:1]
	v_fma_f64 v[142:143], v[140:141], s[2:3], v[0:1]
	v_add_f64 v[0:1], v[114:115], v[146:147]
	v_add_f64 v[140:141], v[0:1], v[150:151]
	;; [unrolled: 1-line block ×3, first 2 shown]
	v_fma_f64 v[0:1], v[0:1], -0.5, v[114:115]
	v_fma_f64 v[114:115], v[144:145], s[2:3], v[0:1]
	v_fma_f64 v[144:145], v[144:145], s[4:5], v[0:1]
	v_add_f64 v[0:1], v[108:109], v[152:153]
	v_add_f64 v[146:147], v[0:1], v[156:157]
	;; [unrolled: 1-line block ×3, first 2 shown]
	v_add_f64 v[152:153], v[152:153], -v[156:157]
	v_add_f64 v[156:157], v[165:166], -v[169:170]
	v_fma_f64 v[0:1], v[0:1], -0.5, v[108:109]
	v_fma_f64 v[108:109], v[148:149], s[4:5], v[0:1]
	v_fma_f64 v[150:151], v[148:149], s[2:3], v[0:1]
	v_add_f64 v[0:1], v[110:111], v[154:155]
	v_add_f64 v[148:149], v[0:1], v[158:159]
	;; [unrolled: 1-line block ×3, first 2 shown]
	v_fma_f64 v[0:1], v[0:1], -0.5, v[110:111]
	v_fma_f64 v[110:111], v[152:153], s[2:3], v[0:1]
	v_fma_f64 v[152:153], v[152:153], s[4:5], v[0:1]
	v_add_f64 v[0:1], v[104:105], v[160:161]
	v_add_f64 v[154:155], v[0:1], v[167:168]
	;; [unrolled: 1-line block ×3, first 2 shown]
	v_add_f64 v[160:161], v[160:161], -v[167:168]
	v_add_f64 v[167:168], v[177:178], -v[181:182]
	v_fma_f64 v[0:1], v[0:1], -0.5, v[104:105]
	v_fma_f64 v[104:105], v[156:157], s[4:5], v[0:1]
	v_fma_f64 v[158:159], v[156:157], s[2:3], v[0:1]
	v_add_f64 v[0:1], v[106:107], v[165:166]
	v_add_f64 v[156:157], v[0:1], v[169:170]
	;; [unrolled: 1-line block ×3, first 2 shown]
	v_add_f64 v[169:170], v[175:176], -v[179:180]
	v_fma_f64 v[0:1], v[0:1], -0.5, v[106:107]
	v_fma_f64 v[106:107], v[160:161], s[2:3], v[0:1]
	v_fma_f64 v[160:161], v[160:161], s[4:5], v[0:1]
	v_add_f64 v[0:1], v[100:101], v[175:176]
	v_add_f64 v[165:166], v[0:1], v[179:180]
	;; [unrolled: 1-line block ×3, first 2 shown]
	v_fma_f64 v[0:1], v[0:1], -0.5, v[100:101]
	v_fma_f64 v[100:101], v[167:168], s[4:5], v[0:1]
	v_fma_f64 v[173:174], v[167:168], s[2:3], v[0:1]
	v_add_f64 v[0:1], v[102:103], v[177:178]
	v_add_f64 v[167:168], v[0:1], v[181:182]
	;; [unrolled: 1-line block ×3, first 2 shown]
	v_fma_f64 v[0:1], v[0:1], -0.5, v[102:103]
	v_fma_f64 v[102:103], v[169:170], s[2:3], v[0:1]
	v_fma_f64 v[175:176], v[169:170], s[4:5], v[0:1]
	v_cndmask_b32_e64 v0, 0, 15, vcc
	v_add_u32_e32 v0, v120, v0
	v_lshl_add_u32 v0, v0, 4, v2
	buffer_store_dword v0, off, s[28:31], 0 offset:56 ; 4-byte Folded Spill
	ds_write_b128 v0, v[130:133]
	ds_write_b128 v0, v[116:119] offset:80
	ds_write_b128 v0, v[134:137] offset:160
	v_mad_legacy_u16 v0, v122, 15, v123
	v_and_b32_e32 v0, 0xff, v0
	v_lshl_add_u32 v0, v0, 4, v2
	buffer_store_dword v0, off, s[28:31], 0 offset:60 ; 4-byte Folded Spill
	ds_write_b128 v0, v[138:141]
	ds_write_b128 v0, v[112:115] offset:80
	ds_write_b128 v0, v[142:145] offset:160
	v_mad_legacy_u16 v0, v124, 15, v125
	v_and_b32_e32 v0, 0xff, v0
	;; [unrolled: 7-line block ×4, first 2 shown]
	v_lshl_add_u32 v0, v0, 4, v2
	buffer_store_dword v0, off, s[28:31], 0 offset:72 ; 4-byte Folded Spill
	ds_write_b128 v0, v[165:168]
	ds_write_b128 v0, v[100:103] offset:80
	ds_write_b128 v0, v[173:176] offset:160
	v_lshlrev_b32_e32 v165, 5, v20
	s_waitcnt vmcnt(0) lgkmcnt(0)
	s_barrier
	ds_read_b128 v[156:159], v4
	ds_read_b128 v[108:111], v4 offset:720
	ds_read_b128 v[112:115], v4 offset:1440
	;; [unrolled: 1-line block ×14, first 2 shown]
	global_load_dwordx4 v[100:103], v165, s[10:11] offset:176
	global_load_dwordx4 v[104:107], v165, s[10:11] offset:160
	v_add_co_u32_e32 v3, vcc, -6, v20
	v_addc_co_u32_e64 v23, s[24:25], 0, -1, vcc
	v_cmp_gt_u16_e32 vcc, 6, v20
	v_cndmask_b32_e32 v161, v23, v7, vcc
	v_cndmask_b32_e32 v160, v3, v162, vcc
	s_movk_i32 s24, 0x89
	v_mul_lo_u16_sdwa v3, v164, s24 dst_sel:DWORD dst_unused:UNUSED_PAD src0_sel:BYTE_0 src1_sel:DWORD
	v_lshrrev_b16_e32 v7, 11, v3
	v_mul_lo_u16_e32 v3, 15, v7
	s_waitcnt vmcnt(0) lgkmcnt(13)
	v_mul_f64 v[0:1], v[110:111], v[106:107]
	v_fma_f64 v[0:1], v[108:109], v[104:105], -v[0:1]
	v_mul_f64 v[108:109], v[108:109], v[106:107]
	v_fma_f64 v[181:182], v[110:111], v[104:105], v[108:109]
	s_waitcnt lgkmcnt(12)
	v_mul_f64 v[108:109], v[114:115], v[102:103]
	v_fma_f64 v[183:184], v[112:113], v[100:101], -v[108:109]
	v_mul_f64 v[108:109], v[112:113], v[102:103]
	v_fma_f64 v[185:186], v[114:115], v[100:101], v[108:109]
	v_lshlrev_b64 v[108:109], 5, v[160:161]
	v_sub_u16_e32 v161, v164, v3
	v_add_co_u32_e32 v112, vcc, s10, v108
	v_addc_co_u32_e32 v113, vcc, v121, v109, vcc
	global_load_dwordx4 v[108:111], v[112:113], off offset:176
	s_nop 0
	global_load_dwordx4 v[112:115], v[112:113], off offset:160
	v_mov_b32_e32 v3, 5
	v_lshlrev_b32_sdwa v3, v3, v161 dst_sel:DWORD dst_unused:UNUSED_PAD src0_sel:DWORD src1_sel:BYTE_0
	v_cmp_lt_u16_e32 vcc, 5, v20
	s_waitcnt vmcnt(0) lgkmcnt(10)
	v_mul_f64 v[120:121], v[118:119], v[114:115]
	v_fma_f64 v[187:188], v[116:117], v[112:113], -v[120:121]
	v_mul_f64 v[116:117], v[116:117], v[114:115]
	v_fma_f64 v[189:190], v[118:119], v[112:113], v[116:117]
	s_waitcnt lgkmcnt(9)
	v_mul_f64 v[116:117], v[124:125], v[110:111]
	v_fma_f64 v[191:192], v[122:123], v[108:109], -v[116:117]
	v_mul_f64 v[116:117], v[122:123], v[110:111]
	v_fma_f64 v[193:194], v[124:125], v[108:109], v[116:117]
	global_load_dwordx4 v[116:119], v165, s[10:11] offset:272
	global_load_dwordx4 v[120:123], v165, s[10:11] offset:256
	s_waitcnt vmcnt(0) lgkmcnt(7)
	v_mul_f64 v[124:125], v[134:135], v[122:123]
	v_fma_f64 v[195:196], v[132:133], v[120:121], -v[124:125]
	v_mul_f64 v[124:125], v[132:133], v[122:123]
	v_fma_f64 v[197:198], v[134:135], v[120:121], v[124:125]
	s_waitcnt lgkmcnt(6)
	v_mul_f64 v[124:125], v[138:139], v[118:119]
	v_fma_f64 v[199:200], v[136:137], v[116:117], -v[124:125]
	v_mul_f64 v[124:125], v[136:137], v[118:119]
	v_fma_f64 v[201:202], v[138:139], v[116:117], v[124:125]
	global_load_dwordx4 v[124:127], v3, s[10:11] offset:176
	global_load_dwordx4 v[132:135], v3, s[10:11] offset:160
	v_mul_lo_u16_sdwa v3, v172, s24 dst_sel:DWORD dst_unused:UNUSED_PAD src0_sel:BYTE_0 src1_sel:DWORD
	v_lshrrev_b16_e32 v3, 11, v3
	v_mul_lo_u16_e32 v3, 15, v3
	v_sub_u16_e32 v3, v172, v3
	s_waitcnt vmcnt(0) lgkmcnt(4)
	v_mul_f64 v[136:137], v[142:143], v[134:135]
	v_fma_f64 v[203:204], v[140:141], v[132:133], -v[136:137]
	v_mul_f64 v[136:137], v[140:141], v[134:135]
	v_fma_f64 v[205:206], v[142:143], v[132:133], v[136:137]
	s_waitcnt lgkmcnt(3)
	v_mul_f64 v[136:137], v[168:169], v[126:127]
	v_fma_f64 v[207:208], v[166:167], v[124:125], -v[136:137]
	v_mul_f64 v[136:137], v[166:167], v[126:127]
	v_and_b32_e32 v166, 0xff, v3
	v_lshlrev_b32_e32 v3, 5, v166
	v_fma_f64 v[209:210], v[168:169], v[124:125], v[136:137]
	global_load_dwordx4 v[136:139], v3, s[10:11] offset:176
	global_load_dwordx4 v[140:143], v3, s[10:11] offset:160
	v_add_f64 v[169:170], v[0:1], v[183:184]
	s_waitcnt vmcnt(0) lgkmcnt(0)
	s_barrier
	v_fma_f64 v[169:170], v[169:170], -0.5, v[156:157]
	v_mul_f64 v[167:168], v[175:176], v[142:143]
	v_fma_f64 v[211:212], v[173:174], v[140:141], -v[167:168]
	v_mul_f64 v[167:168], v[173:174], v[142:143]
	v_add_f64 v[173:174], v[181:182], -v[185:186]
	v_fma_f64 v[213:214], v[175:176], v[140:141], v[167:168]
	v_mul_f64 v[167:168], v[179:180], v[138:139]
	v_add_f64 v[175:176], v[181:182], v[185:186]
	v_fma_f64 v[215:216], v[177:178], v[136:137], -v[167:168]
	v_mul_f64 v[167:168], v[177:178], v[138:139]
	v_fma_f64 v[175:176], v[175:176], -0.5, v[158:159]
	v_fma_f64 v[217:218], v[179:180], v[136:137], v[167:168]
	v_add_f64 v[167:168], v[156:157], v[0:1]
	v_add_f64 v[0:1], v[0:1], -v[183:184]
	v_fma_f64 v[156:157], v[173:174], s[4:5], v[169:170]
	v_fma_f64 v[173:174], v[173:174], s[2:3], v[169:170]
	v_add_f64 v[169:170], v[158:159], v[181:182]
	v_add_f64 v[179:180], v[189:190], -v[193:194]
	v_add_f64 v[167:168], v[167:168], v[183:184]
	v_fma_f64 v[158:159], v[0:1], s[2:3], v[175:176]
	v_fma_f64 v[175:176], v[0:1], s[4:5], v[175:176]
	v_add_f64 v[0:1], v[152:153], v[187:188]
	v_add_f64 v[183:184], v[187:188], -v[191:192]
	v_add_f64 v[169:170], v[169:170], v[185:186]
	ds_write_b128 v4, v[167:170]
	ds_write_b128 v4, v[156:159] offset:240
	ds_write_b128 v4, v[173:176] offset:480
	v_add_f64 v[177:178], v[0:1], v[191:192]
	v_add_f64 v[0:1], v[187:188], v[191:192]
	v_add_f64 v[187:188], v[197:198], -v[201:202]
	v_add_f64 v[191:192], v[195:196], -v[199:200]
	v_fma_f64 v[0:1], v[0:1], -0.5, v[152:153]
	v_fma_f64 v[152:153], v[179:180], s[4:5], v[0:1]
	v_fma_f64 v[181:182], v[179:180], s[2:3], v[0:1]
	v_add_f64 v[0:1], v[154:155], v[189:190]
	v_add_f64 v[179:180], v[0:1], v[193:194]
	v_add_f64 v[0:1], v[189:190], v[193:194]
	v_fma_f64 v[0:1], v[0:1], -0.5, v[154:155]
	v_fma_f64 v[154:155], v[183:184], s[2:3], v[0:1]
	v_fma_f64 v[183:184], v[183:184], s[4:5], v[0:1]
	v_add_f64 v[0:1], v[148:149], v[195:196]
	v_add_f64 v[185:186], v[0:1], v[199:200]
	v_add_f64 v[0:1], v[195:196], v[199:200]
	v_add_f64 v[195:196], v[205:206], -v[209:210]
	v_add_f64 v[199:200], v[203:204], -v[207:208]
	v_fma_f64 v[0:1], v[0:1], -0.5, v[148:149]
	v_fma_f64 v[148:149], v[187:188], s[4:5], v[0:1]
	v_fma_f64 v[189:190], v[187:188], s[2:3], v[0:1]
	v_add_f64 v[0:1], v[150:151], v[197:198]
	v_add_f64 v[187:188], v[0:1], v[201:202]
	v_add_f64 v[0:1], v[197:198], v[201:202]
	v_fma_f64 v[0:1], v[0:1], -0.5, v[150:151]
	v_fma_f64 v[150:151], v[191:192], s[2:3], v[0:1]
	v_fma_f64 v[191:192], v[191:192], s[4:5], v[0:1]
	v_add_f64 v[0:1], v[144:145], v[203:204]
	;; [unrolled: 14-line block ×3, first 2 shown]
	v_add_f64 v[201:202], v[0:1], v[215:216]
	v_add_f64 v[0:1], v[211:212], v[215:216]
	v_fma_f64 v[0:1], v[0:1], -0.5, v[128:129]
	v_fma_f64 v[128:129], v[203:204], s[4:5], v[0:1]
	v_fma_f64 v[205:206], v[203:204], s[2:3], v[0:1]
	v_add_f64 v[0:1], v[130:131], v[213:214]
	v_add_f64 v[203:204], v[0:1], v[217:218]
	;; [unrolled: 1-line block ×3, first 2 shown]
	v_fma_f64 v[0:1], v[0:1], -0.5, v[130:131]
	v_fma_f64 v[130:131], v[207:208], s[2:3], v[0:1]
	v_fma_f64 v[207:208], v[207:208], s[4:5], v[0:1]
	v_cndmask_b32_e64 v0, 0, 45, vcc
	v_add_u32_e32 v0, v160, v0
	v_lshl_add_u32 v0, v0, 4, v2
	buffer_store_dword v0, off, s[28:31], 0 offset:76 ; 4-byte Folded Spill
	ds_write_b128 v0, v[177:180]
	ds_write_b128 v0, v[152:155] offset:240
	ds_write_b128 v0, v[181:184] offset:480
	;; [unrolled: 1-line block ×5, first 2 shown]
	v_mul_u32_u24_e32 v0, 45, v7
	v_add_u32_sdwa v0, v0, v161 dst_sel:DWORD dst_unused:UNUSED_PAD src0_sel:DWORD src1_sel:BYTE_0
	v_lshl_add_u32 v23, v0, 4, v2
	v_lshl_add_u32 v7, v166, 4, v2
	ds_write_b128 v23, v[193:196]
	ds_write_b128 v23, v[144:147] offset:240
	ds_write_b128 v23, v[197:200] offset:480
	;; [unrolled: 1-line block ×5, first 2 shown]
	s_waitcnt vmcnt(0) lgkmcnt(0)
	s_barrier
	ds_read_b128 v[196:199], v4
	ds_read_b128 v[148:151], v4 offset:720
	ds_read_b128 v[152:155], v4 offset:1440
	;; [unrolled: 1-line block ×14, first 2 shown]
	global_load_dwordx4 v[128:131], v165, s[10:11] offset:656
	global_load_dwordx4 v[144:147], v165, s[10:11] offset:640
	v_lshlrev_b32_e32 v2, 5, v162
	s_waitcnt vmcnt(0) lgkmcnt(13)
	v_mul_f64 v[0:1], v[150:151], v[146:147]
	v_fma_f64 v[0:1], v[148:149], v[144:145], -v[0:1]
	v_mul_f64 v[148:149], v[148:149], v[146:147]
	v_fma_f64 v[220:221], v[150:151], v[144:145], v[148:149]
	s_waitcnt lgkmcnt(12)
	v_mul_f64 v[148:149], v[154:155], v[130:131]
	v_fma_f64 v[222:223], v[152:153], v[128:129], -v[148:149]
	v_mul_f64 v[148:149], v[152:153], v[130:131]
	v_fma_f64 v[224:225], v[154:155], v[128:129], v[148:149]
	global_load_dwordx4 v[148:151], v2, s[10:11] offset:656
	global_load_dwordx4 v[152:155], v2, s[10:11] offset:640
	v_lshlrev_b32_e32 v2, 5, v163
	s_waitcnt vmcnt(0) lgkmcnt(10)
	v_mul_f64 v[160:161], v[158:159], v[154:155]
	v_fma_f64 v[226:227], v[156:157], v[152:153], -v[160:161]
	v_mul_f64 v[156:157], v[156:157], v[154:155]
	v_fma_f64 v[228:229], v[158:159], v[152:153], v[156:157]
	s_waitcnt lgkmcnt(9)
	v_mul_f64 v[156:157], v[168:169], v[150:151]
	v_fma_f64 v[230:231], v[166:167], v[148:149], -v[156:157]
	v_mul_f64 v[156:157], v[166:167], v[150:151]
	v_fma_f64 v[232:233], v[168:169], v[148:149], v[156:157]
	;; [unrolled: 13-line block ×3, first 2 shown]
	global_load_dwordx4 v[164:167], v2, s[10:11] offset:656
	global_load_dwordx4 v[168:171], v2, s[10:11] offset:640
	v_lshlrev_b32_e32 v2, 5, v172
	v_add_f64 v[202:203], v[0:1], v[222:223]
	v_fma_f64 v[202:203], v[202:203], -0.5, v[196:197]
	s_waitcnt vmcnt(0) lgkmcnt(4)
	v_mul_f64 v[173:174], v[206:207], v[170:171]
	v_fma_f64 v[242:243], v[204:205], v[168:169], -v[173:174]
	v_mul_f64 v[173:174], v[204:205], v[170:171]
	v_add_f64 v[204:205], v[220:221], -v[224:225]
	v_fma_f64 v[244:245], v[206:207], v[168:169], v[173:174]
	s_waitcnt lgkmcnt(3)
	v_mul_f64 v[173:174], v[210:211], v[166:167]
	v_add_f64 v[206:207], v[220:221], v[224:225]
	v_fma_f64 v[246:247], v[208:209], v[164:165], -v[173:174]
	v_mul_f64 v[173:174], v[208:209], v[166:167]
	v_fma_f64 v[206:207], v[206:207], -0.5, v[198:199]
	v_fma_f64 v[248:249], v[210:211], v[164:165], v[173:174]
	global_load_dwordx4 v[172:175], v2, s[10:11] offset:656
	global_load_dwordx4 v[176:179], v2, s[10:11] offset:640
	v_add_f64 v[210:211], v[228:229], -v[232:233]
	s_waitcnt vmcnt(0) lgkmcnt(1)
	v_mul_f64 v[200:201], v[214:215], v[178:179]
	v_fma_f64 v[250:251], v[212:213], v[176:177], -v[200:201]
	v_mul_f64 v[200:201], v[212:213], v[178:179]
	v_fma_f64 v[252:253], v[214:215], v[176:177], v[200:201]
	s_waitcnt lgkmcnt(0)
	v_mul_f64 v[200:201], v[218:219], v[174:175]
	v_add_f64 v[214:215], v[226:227], -v[230:231]
	v_fma_f64 v[254:255], v[216:217], v[172:173], -v[200:201]
	v_mul_f64 v[200:201], v[216:217], v[174:175]
	v_fma_f64 v[2:3], v[218:219], v[172:173], v[200:201]
	v_add_f64 v[200:201], v[196:197], v[0:1]
	v_add_f64 v[0:1], v[0:1], -v[222:223]
	v_fma_f64 v[196:197], v[204:205], s[4:5], v[202:203]
	v_fma_f64 v[204:205], v[204:205], s[2:3], v[202:203]
	v_add_f64 v[202:203], v[198:199], v[220:221]
	v_add_f64 v[218:219], v[236:237], -v[240:241]
	v_add_f64 v[200:201], v[200:201], v[222:223]
	v_fma_f64 v[198:199], v[0:1], s[2:3], v[206:207]
	v_fma_f64 v[206:207], v[0:1], s[4:5], v[206:207]
	v_add_f64 v[0:1], v[192:193], v[226:227]
	v_add_f64 v[222:223], v[234:235], -v[238:239]
	v_add_f64 v[202:203], v[202:203], v[224:225]
	v_add_f64 v[208:209], v[0:1], v[230:231]
	;; [unrolled: 1-line block ×3, first 2 shown]
	v_add_f64 v[226:227], v[244:245], -v[248:249]
	v_add_f64 v[230:231], v[242:243], -v[246:247]
	v_fma_f64 v[0:1], v[0:1], -0.5, v[192:193]
	v_fma_f64 v[192:193], v[210:211], s[4:5], v[0:1]
	v_fma_f64 v[212:213], v[210:211], s[2:3], v[0:1]
	v_add_f64 v[0:1], v[194:195], v[228:229]
	v_add_f64 v[210:211], v[0:1], v[232:233]
	;; [unrolled: 1-line block ×3, first 2 shown]
	v_fma_f64 v[0:1], v[0:1], -0.5, v[194:195]
	v_fma_f64 v[194:195], v[214:215], s[2:3], v[0:1]
	v_fma_f64 v[214:215], v[214:215], s[4:5], v[0:1]
	v_add_f64 v[0:1], v[188:189], v[234:235]
	v_add_f64 v[216:217], v[0:1], v[238:239]
	;; [unrolled: 1-line block ×3, first 2 shown]
	v_add_f64 v[234:235], v[252:253], -v[2:3]
	v_fma_f64 v[0:1], v[0:1], -0.5, v[188:189]
	v_fma_f64 v[188:189], v[218:219], s[4:5], v[0:1]
	v_fma_f64 v[220:221], v[218:219], s[2:3], v[0:1]
	v_add_f64 v[0:1], v[190:191], v[236:237]
	v_add_f64 v[218:219], v[0:1], v[240:241]
	v_add_f64 v[0:1], v[236:237], v[240:241]
	v_fma_f64 v[0:1], v[0:1], -0.5, v[190:191]
	v_fma_f64 v[190:191], v[222:223], s[2:3], v[0:1]
	v_fma_f64 v[222:223], v[222:223], s[4:5], v[0:1]
	v_add_f64 v[0:1], v[184:185], v[242:243]
	v_add_f64 v[224:225], v[0:1], v[246:247]
	v_add_f64 v[0:1], v[242:243], v[246:247]
	;; [unrolled: 6-line block ×5, first 2 shown]
	v_add_f64 v[2:3], v[250:251], -v[254:255]
	v_fma_f64 v[0:1], v[0:1], -0.5, v[182:183]
	v_fma_f64 v[182:183], v[2:3], s[2:3], v[0:1]
	v_fma_f64 v[238:239], v[2:3], s[4:5], v[0:1]
	ds_write_b128 v4, v[200:203]
	ds_write_b128 v4, v[196:199] offset:720
	ds_write_b128 v4, v[204:207] offset:1440
	;; [unrolled: 1-line block ×14, first 2 shown]
	s_waitcnt lgkmcnt(0)
	s_barrier
	global_load_dwordx4 v[184:187], v6, s[8:9] offset:2160
	ds_read_b128 v[180:183], v4
	s_waitcnt vmcnt(0) lgkmcnt(0)
	v_mul_f64 v[0:1], v[182:183], v[186:187]
	v_fma_f64 v[188:189], v[180:181], v[184:185], -v[0:1]
	v_mul_f64 v[0:1], v[180:181], v[186:187]
	v_fma_f64 v[190:191], v[182:183], v[184:185], v[0:1]
	global_load_dwordx4 v[184:187], v6, s[6:7] offset:432
	ds_read_b128 v[180:183], v4 offset:432
	ds_write_b128 v4, v[188:191]
	s_waitcnt vmcnt(0) lgkmcnt(1)
	v_mul_f64 v[0:1], v[182:183], v[186:187]
	v_fma_f64 v[188:189], v[180:181], v[184:185], -v[0:1]
	v_mul_f64 v[0:1], v[180:181], v[186:187]
	v_fma_f64 v[190:191], v[182:183], v[184:185], v[0:1]
	global_load_dwordx4 v[184:187], v6, s[6:7] offset:864
	ds_read_b128 v[180:183], v4 offset:864
	ds_write_b128 v4, v[188:191] offset:432
	s_waitcnt vmcnt(0) lgkmcnt(1)
	v_mul_f64 v[0:1], v[182:183], v[186:187]
	v_fma_f64 v[188:189], v[180:181], v[184:185], -v[0:1]
	v_mul_f64 v[0:1], v[180:181], v[186:187]
	v_fma_f64 v[190:191], v[182:183], v[184:185], v[0:1]
	global_load_dwordx4 v[184:187], v6, s[6:7] offset:1296
	ds_read_b128 v[180:183], v4 offset:1296
	ds_write_b128 v4, v[188:191] offset:864
	;; [unrolled: 8-line block ×13, first 2 shown]
	s_waitcnt vmcnt(0) lgkmcnt(1)
	v_mul_f64 v[0:1], v[182:183], v[186:187]
	v_fma_f64 v[188:189], v[180:181], v[184:185], -v[0:1]
	v_mul_f64 v[0:1], v[180:181], v[186:187]
	v_fma_f64 v[190:191], v[182:183], v[184:185], v[0:1]
	ds_write_b128 v4, v[188:191] offset:2016
	s_waitcnt lgkmcnt(0)
	s_barrier
	ds_read_b128 v[192:195], v4
	ds_read_b128 v[220:223], v4 offset:432
	ds_read_b128 v[224:227], v4 offset:864
	;; [unrolled: 1-line block ×14, first 2 shown]
	s_waitcnt lgkmcnt(13)
	v_add_f64 v[180:181], v[192:193], v[220:221]
	s_waitcnt lgkmcnt(10)
	v_add_f64 v[182:183], v[222:223], -v[234:235]
	v_add_f64 v[190:191], v[226:227], -v[230:231]
	;; [unrolled: 1-line block ×5, first 2 shown]
	s_waitcnt lgkmcnt(0)
	s_barrier
	v_add_f64 v[180:181], v[180:181], v[224:225]
	v_add_f64 v[196:197], v[188:189], v[196:197]
	;; [unrolled: 1-line block ×5, first 2 shown]
	v_fma_f64 v[180:181], v[180:181], -0.5, v[192:193]
	v_fma_f64 v[186:187], v[182:183], s[22:23], v[180:181]
	v_fma_f64 v[180:181], v[182:183], s[16:17], v[180:181]
	;; [unrolled: 1-line block ×5, first 2 shown]
	v_add_f64 v[186:187], v[220:221], v[232:233]
	v_fma_f64 v[180:181], v[196:197], s[14:15], v[180:181]
	v_add_f64 v[196:197], v[224:225], -v[220:221]
	v_add_f64 v[220:221], v[220:221], -v[232:233]
	;; [unrolled: 1-line block ×5, first 2 shown]
	v_fma_f64 v[186:187], v[186:187], -0.5, v[192:193]
	v_add_f64 v[198:199], v[196:197], v[198:199]
	v_fma_f64 v[192:193], v[190:191], s[16:17], v[186:187]
	v_fma_f64 v[186:187], v[190:191], s[22:23], v[186:187]
	v_fma_f64 v[192:193], v[182:183], s[18:19], v[192:193]
	v_fma_f64 v[182:183], v[182:183], s[20:21], v[186:187]
	v_fma_f64 v[196:197], v[198:199], s[14:15], v[192:193]
	v_fma_f64 v[192:193], v[198:199], s[14:15], v[182:183]
	v_add_f64 v[182:183], v[194:195], v[222:223]
	v_add_f64 v[198:199], v[222:223], -v[226:227]
	v_add_f64 v[182:183], v[182:183], v[226:227]
	v_add_f64 v[198:199], v[198:199], v[228:229]
	v_add_f64 v[228:229], v[246:247], -v[250:251]
	v_add_f64 v[182:183], v[182:183], v[230:231]
	v_add_f64 v[232:233], v[228:229], v[232:233]
	;; [unrolled: 1-line block ×4, first 2 shown]
	v_fma_f64 v[182:183], v[182:183], -0.5, v[194:195]
	v_fma_f64 v[190:191], v[220:221], s[16:17], v[182:183]
	v_fma_f64 v[182:183], v[220:221], s[22:23], v[182:183]
	;; [unrolled: 1-line block ×6, first 2 shown]
	v_add_f64 v[198:199], v[222:223], v[234:235]
	v_add_f64 v[222:223], v[226:227], -v[222:223]
	v_add_f64 v[226:227], v[230:231], -v[234:235]
	;; [unrolled: 1-line block ×4, first 2 shown]
	v_fma_f64 v[194:195], v[198:199], -0.5, v[194:195]
	v_add_f64 v[222:223], v[222:223], v[226:227]
	v_fma_f64 v[198:199], v[224:225], s[22:23], v[194:195]
	v_fma_f64 v[194:195], v[224:225], s[16:17], v[194:195]
	;; [unrolled: 1-line block ×4, first 2 shown]
	v_add_f64 v[220:221], v[0:1], v[246:247]
	v_fma_f64 v[198:199], v[222:223], s[14:15], v[198:199]
	v_fma_f64 v[194:195], v[222:223], s[14:15], v[194:195]
	v_add_f64 v[220:221], v[220:221], v[250:251]
	v_add_f64 v[222:223], v[248:249], -v[244:245]
	v_add_f64 v[220:221], v[220:221], v[238:239]
	v_add_f64 v[224:225], v[220:221], v[242:243]
	;; [unrolled: 1-line block ×3, first 2 shown]
	v_fma_f64 v[220:221], v[220:221], -0.5, v[0:1]
	v_fma_f64 v[226:227], v[222:223], s[22:23], v[220:221]
	v_fma_f64 v[220:221], v[222:223], s[16:17], v[220:221]
	;; [unrolled: 1-line block ×5, first 2 shown]
	v_add_f64 v[226:227], v[246:247], v[242:243]
	v_fma_f64 v[220:221], v[232:233], s[14:15], v[220:221]
	v_add_f64 v[232:233], v[250:251], -v[246:247]
	v_fma_f64 v[0:1], v[226:227], -0.5, v[0:1]
	v_add_f64 v[232:233], v[232:233], v[234:235]
	v_add_f64 v[234:235], v[246:247], -v[242:243]
	v_add_f64 v[242:243], v[250:251], -v[238:239]
	;; [unrolled: 1-line block ×5, first 2 shown]
	v_fma_f64 v[226:227], v[230:231], s[16:17], v[0:1]
	v_fma_f64 v[0:1], v[230:231], s[22:23], v[0:1]
	v_add_f64 v[230:231], v[248:249], -v[252:253]
	v_fma_f64 v[226:227], v[222:223], s[18:19], v[226:227]
	v_fma_f64 v[0:1], v[222:223], s[20:21], v[0:1]
	v_add_f64 v[238:239], v[230:231], v[238:239]
	v_fma_f64 v[236:237], v[232:233], s[14:15], v[226:227]
	v_fma_f64 v[232:233], v[232:233], s[14:15], v[0:1]
	v_add_f64 v[0:1], v[2:3], v[248:249]
	v_add_f64 v[0:1], v[0:1], v[252:253]
	;; [unrolled: 1-line block ×5, first 2 shown]
	v_add_f64 v[240:241], v[240:241], -v[244:245]
	v_fma_f64 v[0:1], v[0:1], -0.5, v[2:3]
	v_fma_f64 v[222:223], v[234:235], s[16:17], v[0:1]
	v_fma_f64 v[0:1], v[234:235], s[22:23], v[0:1]
	;; [unrolled: 1-line block ×6, first 2 shown]
	v_add_f64 v[0:1], v[248:249], v[244:245]
	v_add_f64 v[238:239], v[252:253], -v[248:249]
	v_add_f64 v[244:245], v[208:209], -v[212:213]
	;; [unrolled: 1-line block ×3, first 2 shown]
	v_fma_f64 v[0:1], v[0:1], -0.5, v[2:3]
	v_add_f64 v[240:241], v[238:239], v[240:241]
	v_add_f64 v[244:245], v[244:245], v[248:249]
	v_add_f64 v[248:249], v[212:213], -v[208:209]
	v_fma_f64 v[2:3], v[242:243], s[22:23], v[0:1]
	v_fma_f64 v[0:1], v[242:243], s[16:17], v[0:1]
	v_add_f64 v[242:243], v[210:211], -v[206:207]
	v_add_f64 v[248:249], v[248:249], v[250:251]
	v_fma_f64 v[2:3], v[234:235], s[20:21], v[2:3]
	v_fma_f64 v[0:1], v[234:235], s[18:19], v[0:1]
	;; [unrolled: 1-line block ×3, first 2 shown]
	v_add_f64 v[2:3], v[212:213], v[200:201]
	v_fma_f64 v[234:235], v[240:241], s[14:15], v[0:1]
	v_add_f64 v[0:1], v[216:217], v[208:209]
	v_fma_f64 v[2:3], v[2:3], -0.5, v[216:217]
	v_add_f64 v[0:1], v[0:1], v[212:213]
	v_fma_f64 v[240:241], v[242:243], s[22:23], v[2:3]
	v_fma_f64 v[2:3], v[242:243], s[16:17], v[2:3]
	v_add_f64 v[0:1], v[0:1], v[200:201]
	v_add_f64 v[200:201], v[212:213], -v[200:201]
	v_add_f64 v[212:213], v[210:211], -v[214:215]
	v_fma_f64 v[240:241], v[246:247], s[18:19], v[240:241]
	v_fma_f64 v[2:3], v[246:247], s[20:21], v[2:3]
	v_add_f64 v[0:1], v[0:1], v[204:205]
	v_fma_f64 v[240:241], v[244:245], s[14:15], v[240:241]
	v_fma_f64 v[244:245], v[244:245], s[14:15], v[2:3]
	v_add_f64 v[2:3], v[208:209], v[204:205]
	v_add_f64 v[204:205], v[208:209], -v[204:205]
	v_fma_f64 v[2:3], v[2:3], -0.5, v[216:217]
	v_fma_f64 v[216:217], v[246:247], s[16:17], v[2:3]
	v_fma_f64 v[2:3], v[246:247], s[22:23], v[2:3]
	;; [unrolled: 1-line block ×4, first 2 shown]
	v_add_f64 v[242:243], v[214:215], v[202:203]
	v_fma_f64 v[216:217], v[248:249], s[14:15], v[216:217]
	v_fma_f64 v[248:249], v[248:249], s[14:15], v[2:3]
	v_fma_f64 v[246:247], v[242:243], -0.5, v[218:219]
	v_add_f64 v[242:243], v[206:207], -v[202:203]
	v_add_f64 v[2:3], v[218:219], v[210:211]
	v_fma_f64 v[208:209], v[204:205], s[16:17], v[246:247]
	v_add_f64 v[212:213], v[212:213], v[242:243]
	v_add_f64 v[2:3], v[2:3], v[214:215]
	v_fma_f64 v[208:209], v[200:201], s[20:21], v[208:209]
	v_add_f64 v[2:3], v[2:3], v[202:203]
	v_add_f64 v[202:203], v[202:203], -v[206:207]
	v_fma_f64 v[242:243], v[212:213], s[14:15], v[208:209]
	v_fma_f64 v[208:209], v[204:205], s[22:23], v[246:247]
	v_add_f64 v[2:3], v[2:3], v[206:207]
	v_fma_f64 v[208:209], v[200:201], s[18:19], v[208:209]
	v_fma_f64 v[246:247], v[212:213], s[14:15], v[208:209]
	v_add_f64 v[208:209], v[210:211], v[206:207]
	v_add_f64 v[210:211], v[214:215], -v[210:211]
	v_fma_f64 v[208:209], v[208:209], -0.5, v[218:219]
	v_add_f64 v[202:203], v[210:211], v[202:203]
	v_fma_f64 v[212:213], v[200:201], s[22:23], v[208:209]
	v_fma_f64 v[200:201], v[200:201], s[16:17], v[208:209]
	;; [unrolled: 1-line block ×6, first 2 shown]
	ds_write_b128 v21, v[184:187]
	ds_write_b128 v21, v[188:191] offset:16
	ds_write_b128 v21, v[196:199] offset:32
	ds_write_b128 v21, v[192:195] offset:48
	ds_write_b128 v21, v[180:183] offset:64
	ds_write_b128 v22, v[224:227]
	ds_write_b128 v22, v[228:231] offset:16
	ds_write_b128 v22, v[236:239] offset:32
	ds_write_b128 v22, v[232:235] offset:48
	ds_write_b128 v22, v[220:223] offset:64
	;; [unrolled: 5-line block ×3, first 2 shown]
	s_waitcnt lgkmcnt(0)
	s_barrier
	ds_read_b128 v[0:3], v4
	ds_read_b128 v[184:187], v4 offset:720
	ds_read_b128 v[188:191], v4 offset:1440
	;; [unrolled: 1-line block ×14, first 2 shown]
	s_waitcnt lgkmcnt(13)
	v_mul_f64 v[5:6], v[66:67], v[186:187]
	v_mul_f64 v[21:22], v[66:67], v[184:185]
	s_waitcnt lgkmcnt(0)
	s_barrier
	v_fma_f64 v[5:6], v[64:65], v[184:185], v[5:6]
	v_fma_f64 v[21:22], v[64:65], v[186:187], -v[21:22]
	v_mul_f64 v[64:65], v[62:63], v[190:191]
	v_mul_f64 v[62:63], v[62:63], v[188:189]
	v_fma_f64 v[66:67], v[60:61], v[188:189], v[64:65]
	v_fma_f64 v[184:185], v[60:61], v[190:191], -v[62:63]
	v_mul_f64 v[60:61], v[74:75], v[198:199]
	v_add_f64 v[62:63], v[5:6], v[66:67]
	v_add_f64 v[64:65], v[21:22], -v[184:185]
	v_fma_f64 v[186:187], v[72:73], v[196:197], v[60:61]
	v_mul_f64 v[60:61], v[74:75], v[196:197]
	v_fma_f64 v[62:63], v[62:63], -0.5, v[0:1]
	v_fma_f64 v[74:75], v[72:73], v[198:199], -v[60:61]
	v_mul_f64 v[60:61], v[70:71], v[202:203]
	v_fma_f64 v[188:189], v[68:69], v[200:201], v[60:61]
	v_mul_f64 v[60:61], v[70:71], v[200:201]
	v_fma_f64 v[190:191], v[68:69], v[202:203], -v[60:61]
	v_mul_f64 v[60:61], v[82:83], v[210:211]
	v_fma_f64 v[196:197], v[80:81], v[208:209], v[60:61]
	v_mul_f64 v[60:61], v[82:83], v[208:209]
	v_fma_f64 v[198:199], v[80:81], v[210:211], -v[60:61]
	v_mul_f64 v[60:61], v[78:79], v[214:215]
	v_fma_f64 v[200:201], v[76:77], v[212:213], v[60:61]
	v_mul_f64 v[60:61], v[78:79], v[212:213]
	v_fma_f64 v[202:203], v[76:77], v[214:215], -v[60:61]
	v_mul_f64 v[60:61], v[90:91], v[222:223]
	v_fma_f64 v[208:209], v[88:89], v[220:221], v[60:61]
	v_mul_f64 v[60:61], v[90:91], v[220:221]
	v_fma_f64 v[210:211], v[88:89], v[222:223], -v[60:61]
	v_mul_f64 v[60:61], v[86:87], v[226:227]
	v_fma_f64 v[212:213], v[84:85], v[224:225], v[60:61]
	v_mul_f64 v[60:61], v[86:87], v[224:225]
	v_fma_f64 v[214:215], v[84:85], v[226:227], -v[60:61]
	v_mul_f64 v[60:61], v[98:99], v[230:231]
	v_fma_f64 v[220:221], v[96:97], v[228:229], v[60:61]
	v_mul_f64 v[60:61], v[98:99], v[228:229]
	v_fma_f64 v[222:223], v[96:97], v[230:231], -v[60:61]
	v_mul_f64 v[60:61], v[94:95], v[234:235]
	v_fma_f64 v[224:225], v[92:93], v[232:233], v[60:61]
	v_mul_f64 v[60:61], v[94:95], v[232:233]
	v_fma_f64 v[226:227], v[92:93], v[234:235], -v[60:61]
	v_add_f64 v[60:61], v[0:1], v[5:6]
	v_fma_f64 v[0:1], v[64:65], s[2:3], v[62:63]
	v_fma_f64 v[64:65], v[64:65], s[4:5], v[62:63]
	v_add_f64 v[62:63], v[2:3], v[21:22]
	v_add_f64 v[21:22], v[21:22], v[184:185]
	v_add_f64 v[5:6], v[5:6], -v[66:67]
	v_add_f64 v[60:61], v[60:61], v[66:67]
	v_add_f64 v[62:63], v[62:63], v[184:185]
	v_fma_f64 v[21:22], v[21:22], -0.5, v[2:3]
	v_fma_f64 v[2:3], v[5:6], s[4:5], v[21:22]
	v_fma_f64 v[66:67], v[5:6], s[2:3], v[21:22]
	v_add_f64 v[5:6], v[192:193], v[186:187]
	v_add_f64 v[21:22], v[74:75], -v[190:191]
	v_add_f64 v[68:69], v[5:6], v[188:189]
	v_add_f64 v[5:6], v[186:187], v[188:189]
	v_fma_f64 v[5:6], v[5:6], -0.5, v[192:193]
	v_fma_f64 v[72:73], v[21:22], s[2:3], v[5:6]
	v_fma_f64 v[76:77], v[21:22], s[4:5], v[5:6]
	;; [unrolled: 7-line block ×9, first 2 shown]
	buffer_load_dword v5, off, s[28:31], 0 offset:56 ; 4-byte Folded Reload
	s_waitcnt vmcnt(0)
	ds_write_b128 v5, v[60:63]
	ds_write_b128 v5, v[0:3] offset:80
	ds_write_b128 v5, v[64:67] offset:160
	buffer_load_dword v0, off, s[28:31], 0 offset:60 ; 4-byte Folded Reload
	s_waitcnt vmcnt(0)
	ds_write_b128 v0, v[68:71]
	ds_write_b128 v0, v[72:75] offset:80
	ds_write_b128 v0, v[76:79] offset:160
	;; [unrolled: 5-line block ×5, first 2 shown]
	s_waitcnt lgkmcnt(0)
	s_barrier
	ds_read_b128 v[0:3], v4
	ds_read_b128 v[60:63], v4 offset:720
	ds_read_b128 v[64:67], v4 offset:1440
	;; [unrolled: 1-line block ×14, first 2 shown]
	s_waitcnt lgkmcnt(13)
	v_mul_f64 v[5:6], v[106:107], v[62:63]
	v_mul_f64 v[21:22], v[106:107], v[60:61]
	s_waitcnt lgkmcnt(0)
	s_barrier
	v_fma_f64 v[5:6], v[104:105], v[60:61], v[5:6]
	v_mul_f64 v[60:61], v[102:103], v[66:67]
	v_fma_f64 v[21:22], v[104:105], v[62:63], -v[21:22]
	v_fma_f64 v[104:105], v[100:101], v[64:65], v[60:61]
	v_mul_f64 v[60:61], v[102:103], v[64:65]
	v_add_f64 v[62:63], v[5:6], v[104:105]
	v_fma_f64 v[66:67], v[100:101], v[66:67], -v[60:61]
	v_mul_f64 v[60:61], v[114:115], v[74:75]
	v_fma_f64 v[62:63], v[62:63], -0.5, v[0:1]
	v_add_f64 v[64:65], v[21:22], -v[66:67]
	v_fma_f64 v[100:101], v[112:113], v[72:73], v[60:61]
	v_mul_f64 v[60:61], v[114:115], v[72:73]
	v_fma_f64 v[102:103], v[112:113], v[74:75], -v[60:61]
	v_mul_f64 v[60:61], v[110:111], v[78:79]
	v_fma_f64 v[106:107], v[108:109], v[76:77], v[60:61]
	v_mul_f64 v[60:61], v[110:111], v[76:77]
	v_fma_f64 v[78:79], v[108:109], v[78:79], -v[60:61]
	v_mul_f64 v[60:61], v[122:123], v[86:87]
	;; [unrolled: 4-line block ×7, first 2 shown]
	v_fma_f64 v[126:127], v[136:137], v[192:193], v[60:61]
	v_mul_f64 v[60:61], v[138:139], v[192:193]
	v_fma_f64 v[132:133], v[136:137], v[194:195], -v[60:61]
	v_add_f64 v[60:61], v[0:1], v[5:6]
	v_fma_f64 v[0:1], v[64:65], s[2:3], v[62:63]
	v_fma_f64 v[64:65], v[64:65], s[4:5], v[62:63]
	v_add_f64 v[62:63], v[2:3], v[21:22]
	v_add_f64 v[21:22], v[21:22], v[66:67]
	v_add_f64 v[5:6], v[5:6], -v[104:105]
	v_add_f64 v[60:61], v[60:61], v[104:105]
	v_add_f64 v[62:63], v[62:63], v[66:67]
	v_fma_f64 v[21:22], v[21:22], -0.5, v[2:3]
	v_fma_f64 v[2:3], v[5:6], s[4:5], v[21:22]
	v_fma_f64 v[66:67], v[5:6], s[2:3], v[21:22]
	v_add_f64 v[5:6], v[68:69], v[100:101]
	v_add_f64 v[21:22], v[102:103], -v[78:79]
	ds_write_b128 v4, v[60:63]
	ds_write_b128 v4, v[0:3] offset:240
	ds_write_b128 v4, v[64:67] offset:480
	buffer_load_dword v0, off, s[28:31], 0 offset:76 ; 4-byte Folded Reload
	v_add_f64 v[72:73], v[5:6], v[106:107]
	v_add_f64 v[5:6], v[100:101], v[106:107]
	v_fma_f64 v[5:6], v[5:6], -0.5, v[68:69]
	v_fma_f64 v[68:69], v[21:22], s[2:3], v[5:6]
	v_fma_f64 v[76:77], v[21:22], s[4:5], v[5:6]
	v_add_f64 v[5:6], v[70:71], v[102:103]
	v_add_f64 v[21:22], v[100:101], -v[106:107]
	v_add_f64 v[74:75], v[5:6], v[78:79]
	v_add_f64 v[5:6], v[102:103], v[78:79]
	v_fma_f64 v[5:6], v[5:6], -0.5, v[70:71]
	v_fma_f64 v[70:71], v[21:22], s[4:5], v[5:6]
	v_fma_f64 v[78:79], v[21:22], s[2:3], v[5:6]
	v_add_f64 v[5:6], v[80:81], v[108:109]
	v_add_f64 v[21:22], v[110:111], -v[90:91]
	;; [unrolled: 7-line block ×7, first 2 shown]
	v_add_f64 v[106:107], v[5:6], v[132:133]
	v_add_f64 v[5:6], v[124:125], v[132:133]
	v_fma_f64 v[5:6], v[5:6], -0.5, v[186:187]
	v_fma_f64 v[110:111], v[21:22], s[4:5], v[5:6]
	v_fma_f64 v[114:115], v[21:22], s[2:3], v[5:6]
	s_waitcnt vmcnt(0)
	ds_write_b128 v0, v[72:75]
	ds_write_b128 v0, v[68:71] offset:240
	ds_write_b128 v0, v[76:79] offset:480
	;; [unrolled: 1-line block ×5, first 2 shown]
	ds_write_b128 v23, v[96:99]
	ds_write_b128 v23, v[92:95] offset:240
	ds_write_b128 v23, v[100:103] offset:480
	;; [unrolled: 1-line block ×5, first 2 shown]
	s_waitcnt lgkmcnt(0)
	s_barrier
	ds_read_b128 v[0:3], v4
	ds_read_b128 v[60:63], v4 offset:720
	ds_read_b128 v[64:67], v4 offset:1440
	;; [unrolled: 1-line block ×14, first 2 shown]
	s_waitcnt lgkmcnt(13)
	v_mul_f64 v[5:6], v[146:147], v[62:63]
	v_mul_f64 v[21:22], v[146:147], v[60:61]
	v_mov_b32_e32 v7, 0xfffff9d0
	v_fma_f64 v[5:6], v[144:145], v[60:61], v[5:6]
	s_waitcnt lgkmcnt(12)
	v_mul_f64 v[60:61], v[130:131], v[66:67]
	v_fma_f64 v[21:22], v[144:145], v[62:63], -v[21:22]
	v_fma_f64 v[116:117], v[128:129], v[64:65], v[60:61]
	v_mul_f64 v[60:61], v[130:131], v[64:65]
	v_add_f64 v[62:63], v[5:6], v[116:117]
	v_fma_f64 v[66:67], v[128:129], v[66:67], -v[60:61]
	s_waitcnt lgkmcnt(10)
	v_mul_f64 v[60:61], v[154:155], v[74:75]
	v_fma_f64 v[62:63], v[62:63], -0.5, v[0:1]
	v_add_f64 v[64:65], v[21:22], -v[66:67]
	v_fma_f64 v[118:119], v[152:153], v[72:73], v[60:61]
	v_mul_f64 v[60:61], v[154:155], v[72:73]
	v_fma_f64 v[120:121], v[152:153], v[74:75], -v[60:61]
	s_waitcnt lgkmcnt(9)
	v_mul_f64 v[60:61], v[150:151], v[78:79]
	v_fma_f64 v[122:123], v[148:149], v[76:77], v[60:61]
	v_mul_f64 v[60:61], v[150:151], v[76:77]
	v_fma_f64 v[78:79], v[148:149], v[78:79], -v[60:61]
	s_waitcnt lgkmcnt(7)
	v_mul_f64 v[60:61], v[162:163], v[86:87]
	;; [unrolled: 5-line block ×7, first 2 shown]
	v_fma_f64 v[140:141], v[172:173], v[112:113], v[60:61]
	v_mul_f64 v[60:61], v[174:175], v[112:113]
	v_fma_f64 v[114:115], v[172:173], v[114:115], -v[60:61]
	v_add_f64 v[60:61], v[0:1], v[5:6]
	v_fma_f64 v[0:1], v[64:65], s[2:3], v[62:63]
	v_fma_f64 v[64:65], v[64:65], s[4:5], v[62:63]
	v_add_f64 v[62:63], v[2:3], v[21:22]
	v_add_f64 v[21:22], v[21:22], v[66:67]
	v_add_f64 v[5:6], v[5:6], -v[116:117]
	v_add_f64 v[60:61], v[60:61], v[116:117]
	v_add_f64 v[62:63], v[62:63], v[66:67]
	v_fma_f64 v[21:22], v[21:22], -0.5, v[2:3]
	v_fma_f64 v[2:3], v[5:6], s[4:5], v[21:22]
	v_fma_f64 v[66:67], v[5:6], s[2:3], v[21:22]
	v_add_f64 v[5:6], v[68:69], v[118:119]
	v_add_f64 v[21:22], v[120:121], -v[78:79]
	v_add_f64 v[72:73], v[5:6], v[122:123]
	v_add_f64 v[5:6], v[118:119], v[122:123]
	v_fma_f64 v[5:6], v[5:6], -0.5, v[68:69]
	v_fma_f64 v[68:69], v[21:22], s[2:3], v[5:6]
	v_fma_f64 v[76:77], v[21:22], s[4:5], v[5:6]
	;; [unrolled: 7-line block ×9, first 2 shown]
	ds_write_b128 v4, v[60:63]
	ds_write_b128 v4, v[0:3] offset:720
	ds_write_b128 v4, v[64:67] offset:1440
	;; [unrolled: 1-line block ×14, first 2 shown]
	s_waitcnt lgkmcnt(0)
	s_barrier
	ds_read_b128 v[0:3], v4
	s_mov_b32 s2, 0xc901e574
	s_mov_b32 s3, 0x3f7e573a
	s_waitcnt lgkmcnt(0)
	v_mul_f64 v[5:6], v[42:43], v[2:3]
	v_fma_f64 v[5:6], v[40:41], v[0:1], v[5:6]
	v_mul_f64 v[0:1], v[42:43], v[0:1]
	v_mul_f64 v[60:61], v[5:6], s[2:3]
	v_fma_f64 v[0:1], v[40:41], v[2:3], -v[0:1]
	v_mov_b32_e32 v5, s13
	v_mul_f64 v[62:63], v[0:1], s[2:3]
	v_mad_u64_u32 v[0:1], s[4:5], s0, v20, 0
	v_mad_u64_u32 v[1:2], s[4:5], s1, v20, v[1:2]
	buffer_load_dword v2, off, s[28:31], 0 offset:16 ; 4-byte Folded Reload
	buffer_load_dword v3, off, s[28:31], 0 offset:20 ; 4-byte Folded Reload
	s_mul_i32 s4, s1, 0x1b0
	v_lshlrev_b64 v[0:1], 4, v[0:1]
	s_mul_hi_u32 s5, s0, 0x1b0
	s_add_i32 s4, s5, s4
	s_mul_i32 s5, s0, 0x1b0
	s_mulk_i32 s1, 0xf9d0
	s_sub_i32 s1, s1, s0
	s_waitcnt vmcnt(0)
	v_lshlrev_b64 v[2:3], 4, v[2:3]
	v_add_co_u32_e32 v2, vcc, s12, v2
	v_addc_co_u32_e32 v3, vcc, v5, v3, vcc
	v_add_co_u32_e32 v5, vcc, v2, v0
	v_addc_co_u32_e32 v6, vcc, v3, v1, vcc
	ds_read_b128 v[0:3], v4 offset:432
	global_store_dwordx4 v[5:6], v[60:63], off
	v_add_co_u32_e32 v5, vcc, s5, v5
	s_waitcnt lgkmcnt(0)
	v_mul_f64 v[20:21], v[46:47], v[2:3]
	v_fma_f64 v[20:21], v[44:45], v[0:1], v[20:21]
	v_mul_f64 v[0:1], v[46:47], v[0:1]
	v_mul_f64 v[20:21], v[20:21], s[2:3]
	v_fma_f64 v[0:1], v[44:45], v[2:3], -v[0:1]
	v_mul_f64 v[22:23], v[0:1], s[2:3]
	v_mov_b32_e32 v0, s4
	v_addc_co_u32_e32 v6, vcc, v6, v0, vcc
	ds_read_b128 v[0:3], v4 offset:864
	global_store_dwordx4 v[5:6], v[20:23], off
	s_waitcnt lgkmcnt(0)
	v_mul_f64 v[20:21], v[50:51], v[2:3]
	v_add_co_u32_e32 v5, vcc, s5, v5
	v_fma_f64 v[20:21], v[48:49], v[0:1], v[20:21]
	v_mul_f64 v[0:1], v[50:51], v[0:1]
	v_mul_f64 v[20:21], v[20:21], s[2:3]
	v_fma_f64 v[0:1], v[48:49], v[2:3], -v[0:1]
	v_mul_f64 v[22:23], v[0:1], s[2:3]
	v_mov_b32_e32 v0, s4
	v_addc_co_u32_e32 v6, vcc, v6, v0, vcc
	ds_read_b128 v[0:3], v4 offset:1296
	global_store_dwordx4 v[5:6], v[20:23], off
	s_waitcnt lgkmcnt(0)
	v_mul_f64 v[20:21], v[54:55], v[2:3]
	v_add_co_u32_e32 v5, vcc, s5, v5
	;; [unrolled: 12-line block ×3, first 2 shown]
	v_fma_f64 v[20:21], v[56:57], v[0:1], v[20:21]
	v_mul_f64 v[0:1], v[58:59], v[0:1]
	v_mul_f64 v[20:21], v[20:21], s[2:3]
	v_fma_f64 v[0:1], v[56:57], v[2:3], -v[0:1]
	v_mul_f64 v[22:23], v[0:1], s[2:3]
	v_mov_b32_e32 v0, s4
	v_addc_co_u32_e32 v6, vcc, v6, v0, vcc
	ds_read_b128 v[0:3], v4 offset:144
	global_store_dwordx4 v[5:6], v[20:23], off
	buffer_load_dword v40, off, s[28:31], 0 offset:40 ; 4-byte Folded Reload
	buffer_load_dword v41, off, s[28:31], 0 offset:44 ; 4-byte Folded Reload
	;; [unrolled: 1-line block ×4, first 2 shown]
	v_mad_u64_u32 v[5:6], s[6:7], s0, v7, v[5:6]
	v_add_u32_e32 v6, s1, v6
	s_waitcnt vmcnt(0) lgkmcnt(0)
	v_mul_f64 v[20:21], v[42:43], v[2:3]
	v_fma_f64 v[20:21], v[40:41], v[0:1], v[20:21]
	v_mul_f64 v[0:1], v[42:43], v[0:1]
	v_mul_f64 v[20:21], v[20:21], s[2:3]
	v_fma_f64 v[0:1], v[40:41], v[2:3], -v[0:1]
	v_mul_f64 v[22:23], v[0:1], s[2:3]
	ds_read_b128 v[0:3], v4 offset:576
	global_store_dwordx4 v[5:6], v[20:23], off
	s_waitcnt lgkmcnt(0)
	v_mul_f64 v[20:21], v[26:27], v[2:3]
	v_add_co_u32_e32 v5, vcc, s5, v5
	v_fma_f64 v[20:21], v[24:25], v[0:1], v[20:21]
	v_mul_f64 v[0:1], v[26:27], v[0:1]
	v_mul_f64 v[20:21], v[20:21], s[2:3]
	v_fma_f64 v[0:1], v[24:25], v[2:3], -v[0:1]
	v_mul_f64 v[22:23], v[0:1], s[2:3]
	v_mov_b32_e32 v0, s4
	v_addc_co_u32_e32 v6, vcc, v6, v0, vcc
	ds_read_b128 v[0:3], v4 offset:1008
	global_store_dwordx4 v[5:6], v[20:23], off
	s_waitcnt lgkmcnt(0)
	v_mul_f64 v[20:21], v[30:31], v[2:3]
	v_add_co_u32_e32 v5, vcc, s5, v5
	v_fma_f64 v[20:21], v[28:29], v[0:1], v[20:21]
	v_mul_f64 v[0:1], v[30:31], v[0:1]
	v_mul_f64 v[20:21], v[20:21], s[2:3]
	v_fma_f64 v[0:1], v[28:29], v[2:3], -v[0:1]
	v_mul_f64 v[22:23], v[0:1], s[2:3]
	v_mov_b32_e32 v0, s4
	v_addc_co_u32_e32 v6, vcc, v6, v0, vcc
	;; [unrolled: 12-line block ×4, first 2 shown]
	ds_read_b128 v[0:3], v4 offset:288
	global_store_dwordx4 v[5:6], v[20:23], off
	s_waitcnt lgkmcnt(0)
	v_mul_f64 v[20:21], v[14:15], v[2:3]
	v_mad_u64_u32 v[5:6], s[6:7], s0, v7, v[5:6]
	v_add_u32_e32 v6, s1, v6
	v_fma_f64 v[20:21], v[12:13], v[0:1], v[20:21]
	v_mul_f64 v[0:1], v[14:15], v[0:1]
	v_mul_f64 v[20:21], v[20:21], s[2:3]
	v_fma_f64 v[0:1], v[12:13], v[2:3], -v[0:1]
	v_mul_f64 v[22:23], v[0:1], s[2:3]
	ds_read_b128 v[0:3], v4 offset:720
	s_waitcnt lgkmcnt(0)
	v_mul_f64 v[12:13], v[18:19], v[2:3]
	global_store_dwordx4 v[5:6], v[20:23], off
	v_fma_f64 v[12:13], v[16:17], v[0:1], v[12:13]
	v_mul_f64 v[0:1], v[18:19], v[0:1]
	v_mul_f64 v[12:13], v[12:13], s[2:3]
	v_fma_f64 v[0:1], v[16:17], v[2:3], -v[0:1]
	v_add_co_u32_e32 v16, vcc, s5, v5
	v_mul_f64 v[14:15], v[0:1], s[2:3]
	v_mov_b32_e32 v0, s4
	v_addc_co_u32_e32 v17, vcc, v6, v0, vcc
	ds_read_b128 v[0:3], v4 offset:1152
	global_store_dwordx4 v[16:17], v[12:15], off
	s_waitcnt lgkmcnt(0)
	v_mul_f64 v[5:6], v[10:11], v[2:3]
	v_fma_f64 v[5:6], v[8:9], v[0:1], v[5:6]
	v_mul_f64 v[0:1], v[10:11], v[0:1]
	v_mul_f64 v[5:6], v[5:6], s[2:3]
	v_fma_f64 v[0:1], v[8:9], v[2:3], -v[0:1]
	v_add_co_u32_e32 v9, vcc, s5, v16
	v_mul_f64 v[7:8], v[0:1], s[2:3]
	v_mov_b32_e32 v0, s4
	v_addc_co_u32_e32 v10, vcc, v17, v0, vcc
	ds_read_b128 v[0:3], v4 offset:1584
	global_store_dwordx4 v[9:10], v[5:8], off
	buffer_load_dword v11, off, s[28:31], 0 ; 4-byte Folded Reload
	buffer_load_dword v12, off, s[28:31], 0 offset:4 ; 4-byte Folded Reload
	buffer_load_dword v13, off, s[28:31], 0 offset:8 ; 4-byte Folded Reload
	;; [unrolled: 1-line block ×3, first 2 shown]
	v_add_co_u32_e32 v9, vcc, s5, v9
	s_waitcnt vmcnt(0) lgkmcnt(0)
	v_mul_f64 v[5:6], v[13:14], v[2:3]
	v_fma_f64 v[5:6], v[11:12], v[0:1], v[5:6]
	v_mul_f64 v[0:1], v[13:14], v[0:1]
	v_mul_f64 v[5:6], v[5:6], s[2:3]
	v_fma_f64 v[0:1], v[11:12], v[2:3], -v[0:1]
	v_mul_f64 v[7:8], v[0:1], s[2:3]
	v_mov_b32_e32 v0, s4
	v_addc_co_u32_e32 v10, vcc, v10, v0, vcc
	ds_read_b128 v[0:3], v4 offset:2016
	global_store_dwordx4 v[9:10], v[5:8], off
	buffer_load_dword v11, off, s[28:31], 0 offset:24 ; 4-byte Folded Reload
	buffer_load_dword v12, off, s[28:31], 0 offset:28 ; 4-byte Folded Reload
	;; [unrolled: 1-line block ×4, first 2 shown]
	s_waitcnt vmcnt(0) lgkmcnt(0)
	v_mul_f64 v[4:5], v[13:14], v[2:3]
	v_fma_f64 v[4:5], v[11:12], v[0:1], v[4:5]
	v_mul_f64 v[0:1], v[13:14], v[0:1]
	v_mul_f64 v[4:5], v[4:5], s[2:3]
	v_fma_f64 v[0:1], v[11:12], v[2:3], -v[0:1]
	v_mul_f64 v[6:7], v[0:1], s[2:3]
	v_add_co_u32_e32 v0, vcc, s5, v9
	v_mov_b32_e32 v1, s4
	v_addc_co_u32_e32 v1, vcc, v10, v1, vcc
	global_store_dwordx4 v[0:1], v[4:7], off
.LBB0_2:
	s_endpgm
	.section	.rodata,"a",@progbits
	.p2align	6, 0x0
	.amdhsa_kernel bluestein_single_fwd_len135_dim1_dp_op_CI_CI
		.amdhsa_group_segment_fixed_size 30240
		.amdhsa_private_segment_fixed_size 84
		.amdhsa_kernarg_size 104
		.amdhsa_user_sgpr_count 6
		.amdhsa_user_sgpr_private_segment_buffer 1
		.amdhsa_user_sgpr_dispatch_ptr 0
		.amdhsa_user_sgpr_queue_ptr 0
		.amdhsa_user_sgpr_kernarg_segment_ptr 1
		.amdhsa_user_sgpr_dispatch_id 0
		.amdhsa_user_sgpr_flat_scratch_init 0
		.amdhsa_user_sgpr_private_segment_size 0
		.amdhsa_uses_dynamic_stack 0
		.amdhsa_system_sgpr_private_segment_wavefront_offset 1
		.amdhsa_system_sgpr_workgroup_id_x 1
		.amdhsa_system_sgpr_workgroup_id_y 0
		.amdhsa_system_sgpr_workgroup_id_z 0
		.amdhsa_system_sgpr_workgroup_info 0
		.amdhsa_system_vgpr_workitem_id 0
		.amdhsa_next_free_vgpr 256
		.amdhsa_next_free_sgpr 32
		.amdhsa_reserve_vcc 1
		.amdhsa_reserve_flat_scratch 0
		.amdhsa_float_round_mode_32 0
		.amdhsa_float_round_mode_16_64 0
		.amdhsa_float_denorm_mode_32 3
		.amdhsa_float_denorm_mode_16_64 3
		.amdhsa_dx10_clamp 1
		.amdhsa_ieee_mode 1
		.amdhsa_fp16_overflow 0
		.amdhsa_exception_fp_ieee_invalid_op 0
		.amdhsa_exception_fp_denorm_src 0
		.amdhsa_exception_fp_ieee_div_zero 0
		.amdhsa_exception_fp_ieee_overflow 0
		.amdhsa_exception_fp_ieee_underflow 0
		.amdhsa_exception_fp_ieee_inexact 0
		.amdhsa_exception_int_div_zero 0
	.end_amdhsa_kernel
	.text
.Lfunc_end0:
	.size	bluestein_single_fwd_len135_dim1_dp_op_CI_CI, .Lfunc_end0-bluestein_single_fwd_len135_dim1_dp_op_CI_CI
                                        ; -- End function
	.section	.AMDGPU.csdata,"",@progbits
; Kernel info:
; codeLenInByte = 15032
; NumSgprs: 36
; NumVgprs: 256
; ScratchSize: 84
; MemoryBound: 0
; FloatMode: 240
; IeeeMode: 1
; LDSByteSize: 30240 bytes/workgroup (compile time only)
; SGPRBlocks: 4
; VGPRBlocks: 63
; NumSGPRsForWavesPerEU: 36
; NumVGPRsForWavesPerEU: 256
; Occupancy: 1
; WaveLimiterHint : 1
; COMPUTE_PGM_RSRC2:SCRATCH_EN: 1
; COMPUTE_PGM_RSRC2:USER_SGPR: 6
; COMPUTE_PGM_RSRC2:TRAP_HANDLER: 0
; COMPUTE_PGM_RSRC2:TGID_X_EN: 1
; COMPUTE_PGM_RSRC2:TGID_Y_EN: 0
; COMPUTE_PGM_RSRC2:TGID_Z_EN: 0
; COMPUTE_PGM_RSRC2:TIDIG_COMP_CNT: 0
	.type	__hip_cuid_178bcaa487ace555,@object ; @__hip_cuid_178bcaa487ace555
	.section	.bss,"aw",@nobits
	.globl	__hip_cuid_178bcaa487ace555
__hip_cuid_178bcaa487ace555:
	.byte	0                               ; 0x0
	.size	__hip_cuid_178bcaa487ace555, 1

	.ident	"AMD clang version 19.0.0git (https://github.com/RadeonOpenCompute/llvm-project roc-6.4.0 25133 c7fe45cf4b819c5991fe208aaa96edf142730f1d)"
	.section	".note.GNU-stack","",@progbits
	.addrsig
	.addrsig_sym __hip_cuid_178bcaa487ace555
	.amdgpu_metadata
---
amdhsa.kernels:
  - .args:
      - .actual_access:  read_only
        .address_space:  global
        .offset:         0
        .size:           8
        .value_kind:     global_buffer
      - .actual_access:  read_only
        .address_space:  global
        .offset:         8
        .size:           8
        .value_kind:     global_buffer
      - .actual_access:  read_only
        .address_space:  global
        .offset:         16
        .size:           8
        .value_kind:     global_buffer
      - .actual_access:  read_only
        .address_space:  global
        .offset:         24
        .size:           8
        .value_kind:     global_buffer
      - .actual_access:  read_only
        .address_space:  global
        .offset:         32
        .size:           8
        .value_kind:     global_buffer
      - .offset:         40
        .size:           8
        .value_kind:     by_value
      - .address_space:  global
        .offset:         48
        .size:           8
        .value_kind:     global_buffer
      - .address_space:  global
        .offset:         56
        .size:           8
        .value_kind:     global_buffer
      - .address_space:  global
        .offset:         64
        .size:           8
        .value_kind:     global_buffer
      - .address_space:  global
        .offset:         72
        .size:           8
        .value_kind:     global_buffer
      - .offset:         80
        .size:           4
        .value_kind:     by_value
      - .address_space:  global
        .offset:         88
        .size:           8
        .value_kind:     global_buffer
      - .address_space:  global
        .offset:         96
        .size:           8
        .value_kind:     global_buffer
    .group_segment_fixed_size: 30240
    .kernarg_segment_align: 8
    .kernarg_segment_size: 104
    .language:       OpenCL C
    .language_version:
      - 2
      - 0
    .max_flat_workgroup_size: 126
    .name:           bluestein_single_fwd_len135_dim1_dp_op_CI_CI
    .private_segment_fixed_size: 84
    .sgpr_count:     36
    .sgpr_spill_count: 0
    .symbol:         bluestein_single_fwd_len135_dim1_dp_op_CI_CI.kd
    .uniform_work_group_size: 1
    .uses_dynamic_stack: false
    .vgpr_count:     256
    .vgpr_spill_count: 20
    .wavefront_size: 64
amdhsa.target:   amdgcn-amd-amdhsa--gfx906
amdhsa.version:
  - 1
  - 2
...

	.end_amdgpu_metadata
